;; amdgpu-corpus repo=ROCm/rocFFT kind=compiled arch=gfx1030 opt=O3
	.text
	.amdgcn_target "amdgcn-amd-amdhsa--gfx1030"
	.amdhsa_code_object_version 6
	.protected	bluestein_single_fwd_len1960_dim1_dp_op_CI_CI ; -- Begin function bluestein_single_fwd_len1960_dim1_dp_op_CI_CI
	.globl	bluestein_single_fwd_len1960_dim1_dp_op_CI_CI
	.p2align	8
	.type	bluestein_single_fwd_len1960_dim1_dp_op_CI_CI,@function
bluestein_single_fwd_len1960_dim1_dp_op_CI_CI: ; @bluestein_single_fwd_len1960_dim1_dp_op_CI_CI
; %bb.0:
	s_load_dwordx4 s[12:15], s[4:5], 0x28
	v_mul_u32_u24_e32 v1, 0x493, v0
	s_mov_b64 s[38:39], s[2:3]
	s_mov_b64 s[36:37], s[0:1]
	v_mov_b32_e32 v5, 0
	s_add_u32 s36, s36, s7
	v_lshrrev_b32_e32 v1, 16, v1
	s_addc_u32 s37, s37, 0
	s_mov_b32 s0, exec_lo
	v_add_nc_u32_e32 v4, s6, v1
	s_waitcnt lgkmcnt(0)
	v_cmpx_gt_u64_e64 s[12:13], v[4:5]
	s_cbranch_execz .LBB0_23
; %bb.1:
	s_clause 0x1
	s_load_dwordx4 s[8:11], s[4:5], 0x18
	s_load_dwordx2 s[6:7], s[4:5], 0x0
	v_mul_lo_u16 v1, v1, 56
	v_mov_b32_e32 v5, v4
	v_sub_nc_u16 v0, v0, v1
	v_and_b32_e32 v195, 0xffff, v0
	v_lshlrev_b32_e32 v212, 4, v195
	s_waitcnt lgkmcnt(0)
	s_load_dwordx4 s[0:3], s[8:9], 0x0
	s_clause 0x1
	global_load_dwordx4 v[188:191], v212, s[6:7]
	global_load_dwordx4 v[128:131], v212, s[6:7] offset:896
	v_add_co_u32 v60, s8, s6, v212
	v_add_co_ci_u32_e64 v61, null, s7, 0, s8
	v_add_co_u32 v52, vcc_lo, 0x1800, v60
	v_add_co_ci_u32_e32 v53, vcc_lo, 0, v61, vcc_lo
	v_add_co_u32 v9, vcc_lo, 0x3800, v60
	v_add_co_ci_u32_e32 v10, vcc_lo, 0, v61, vcc_lo
	global_load_dwordx4 v[204:207], v[52:53], off offset:1696
	buffer_store_dword v5, off, s[36:39], 0 offset:344 ; 4-byte Folded Spill
	buffer_store_dword v6, off, s[36:39], 0 offset:348 ; 4-byte Folded Spill
	;; [unrolled: 1-line block ×4, first 2 shown]
	v_add_co_u32 v7, vcc_lo, 0x5800, v60
	v_add_co_ci_u32_e32 v8, vcc_lo, 0, v61, vcc_lo
	v_add_co_u32 v32, vcc_lo, 0x2000, v60
	v_add_co_ci_u32_e32 v33, vcc_lo, 0, v61, vcc_lo
	;; [unrolled: 2-line block ×3, first 2 shown]
	s_waitcnt lgkmcnt(0)
	v_mad_u64_u32 v[0:1], null, s2, v4, 0
	v_mad_u64_u32 v[2:3], null, s0, v195, 0
	s_mul_hi_u32 s9, s0, 0x1ea
	s_mul_i32 s8, s0, 0x1ea
	s_mul_hi_u32 s12, s0, 0xffffa7a0
	s_mul_i32 s16, s1, 0xffffa7a0
	s_mul_i32 s2, s0, 0xffffa7a0
	s_clause 0x3
	global_load_dwordx4 v[200:203], v[9:10], off offset:1344
	global_load_dwordx4 v[176:179], v[7:8], off offset:992
	;; [unrolled: 1-line block ×4, first 2 shown]
	buffer_store_dword v7, off, s[36:39], 0 offset:32 ; 4-byte Folded Spill
	buffer_store_dword v8, off, s[36:39], 0 offset:36 ; 4-byte Folded Spill
	v_mad_u64_u32 v[4:5], null, s3, v4, v[1:2]
	s_mul_i32 s3, s1, 0x1ea
	s_add_i32 s9, s9, s3
	s_sub_i32 s3, s12, s0
	s_lshl_b64 s[12:13], s[8:9], 4
	s_add_i32 s3, s3, s16
	v_mad_u64_u32 v[5:6], null, s1, v195, v[3:4]
	v_mov_b32_e32 v1, v4
	s_mov_b32 s8, 0
	v_lshlrev_b64 v[0:1], 4, v[0:1]
	v_mov_b32_e32 v3, v5
	v_lshlrev_b64 v[2:3], 4, v[2:3]
	v_add_co_u32 v58, vcc_lo, s14, v0
	v_add_co_ci_u32_e32 v59, vcc_lo, s15, v1, vcc_lo
	v_add_co_u32 v0, vcc_lo, v58, v2
	v_add_co_ci_u32_e32 v1, vcc_lo, v59, v3, vcc_lo
	;; [unrolled: 2-line block ×3, first 2 shown]
	global_load_dwordx4 v[24:27], v[0:1], off
	v_add_co_u32 v4, vcc_lo, v2, s12
	global_load_dwordx4 v[20:23], v[2:3], off
	v_add_co_ci_u32_e32 v5, vcc_lo, s13, v3, vcc_lo
	v_add_co_u32 v0, vcc_lo, v4, s12
	v_add_co_ci_u32_e32 v1, vcc_lo, s13, v5, vcc_lo
	v_add_co_u32 v2, vcc_lo, v0, s2
	v_add_co_ci_u32_e32 v3, vcc_lo, s3, v1, vcc_lo
	global_load_dwordx4 v[116:119], v[7:8], off offset:1888
	s_clause 0x1
	global_load_dwordx4 v[16:19], v[4:5], off
	global_load_dwordx4 v[12:15], v[0:1], off
	v_add_co_u32 v0, vcc_lo, v2, s12
	v_add_co_ci_u32_e32 v1, vcc_lo, s13, v3, vcc_lo
	global_load_dwordx4 v[8:11], v[2:3], off
	v_add_co_u32 v2, vcc_lo, v0, s12
	v_add_co_ci_u32_e32 v3, vcc_lo, s13, v1, vcc_lo
	;; [unrolled: 3-line block ×5, first 2 shown]
	s_clause 0x1
	global_load_dwordx4 v[156:159], v212, s[6:7] offset:1792
	global_load_dwordx4 v[152:155], v[32:33], off offset:1440
	global_load_dwordx4 v[36:39], v[34:35], off
	global_load_dwordx4 v[32:35], v[40:41], off
	v_add_co_u32 v44, vcc_lo, v40, s12
	v_add_co_ci_u32_e32 v45, vcc_lo, s13, v41, vcc_lo
	v_add_co_u32 v62, vcc_lo, 0x6000, v60
	v_add_co_ci_u32_e32 v63, vcc_lo, 0, v61, vcc_lo
	;; [unrolled: 2-line block ×12, first 2 shown]
	global_load_dwordx4 v[144:147], v[54:55], off offset:1088
	global_load_dwordx4 v[40:43], v[44:45], off
	global_load_dwordx4 v[140:143], v[62:63], off offset:736
	global_load_dwordx4 v[44:47], v[48:49], off
	;; [unrolled: 2-line block ×3, first 2 shown]
	s_clause 0x11
	global_load_dwordx4 v[237:240], v[54:55], off offset:1984
	global_load_dwordx4 v[233:236], v[62:63], off offset:1632
	;; [unrolled: 1-line block ×18, first 2 shown]
	buffer_store_dword v60, off, s[36:39], 0 offset:48 ; 4-byte Folded Spill
	buffer_store_dword v61, off, s[36:39], 0 offset:52 ; 4-byte Folded Spill
	v_add_co_u32 v52, vcc_lo, v56, s12
	v_add_co_ci_u32_e32 v53, vcc_lo, s13, v57, vcc_lo
	s_waitcnt vmcnt(36)
	v_mul_f64 v[92:93], v[26:27], v[190:191]
	v_add_co_u32 v56, vcc_lo, v52, s12
	v_add_co_ci_u32_e32 v57, vcc_lo, s13, v53, vcc_lo
	s_waitcnt vmcnt(35)
	v_mul_f64 v[96:97], v[22:23], v[206:207]
	v_add_co_u32 v64, vcc_lo, v56, s12
	v_add_co_ci_u32_e32 v65, vcc_lo, s13, v57, vcc_lo
	global_load_dwordx4 v[52:55], v[52:53], off
	v_mul_f64 v[94:95], v[24:25], v[190:191]
	v_mul_f64 v[98:99], v[20:21], v[206:207]
	v_fma_f64 v[24:25], v[24:25], v[188:189], v[92:93]
	v_fma_f64 v[20:21], v[20:21], v[204:205], v[96:97]
	s_waitcnt vmcnt(34)
	v_mul_f64 v[100:101], v[18:19], v[202:203]
	s_waitcnt vmcnt(33)
	v_mul_f64 v[104:105], v[14:15], v[178:179]
	v_mul_f64 v[102:103], v[16:17], v[202:203]
	;; [unrolled: 1-line block ×3, first 2 shown]
	s_waitcnt vmcnt(32)
	v_mul_f64 v[108:109], v[10:11], v[130:131]
	v_mul_f64 v[110:111], v[8:9], v[130:131]
	s_waitcnt vmcnt(31)
	v_mul_f64 v[92:93], v[6:7], v[114:115]
	s_waitcnt vmcnt(30)
	v_mul_f64 v[96:97], v[2:3], v[122:123]
	v_fma_f64 v[16:17], v[16:17], v[200:201], v[100:101]
	v_fma_f64 v[12:13], v[12:13], v[176:177], v[104:105]
	s_waitcnt vmcnt(29)
	v_mul_f64 v[100:101], v[30:31], v[118:119]
	s_waitcnt vmcnt(26)
	v_mul_f64 v[104:105], v[38:39], v[158:159]
	v_fma_f64 v[8:9], v[8:9], v[128:129], v[108:109]
	s_waitcnt vmcnt(25)
	v_mul_f64 v[108:109], v[34:35], v[154:155]
	global_load_dwordx4 v[180:183], v[60:61], off offset:1120
	global_load_dwordx4 v[60:63], v[56:57], off
	v_add_co_u32 v56, vcc_lo, v64, s2
	v_add_co_ci_u32_e32 v57, vcc_lo, s3, v65, vcc_lo
	global_load_dwordx4 v[64:67], v[64:65], off
	v_add_co_u32 v72, vcc_lo, v56, s12
	v_add_co_ci_u32_e32 v73, vcc_lo, s13, v57, vcc_lo
	;; [unrolled: 3-line block ×6, first 2 shown]
	global_load_dwordx4 v[84:87], v[84:85], off
	global_load_dwordx4 v[88:91], v[56:57], off
	buffer_store_dword v188, off, s[36:39], 0 offset:368 ; 4-byte Folded Spill
	buffer_store_dword v189, off, s[36:39], 0 offset:372 ; 4-byte Folded Spill
	;; [unrolled: 1-line block ×20, first 2 shown]
	v_add_co_u32 v56, vcc_lo, v56, s12
	v_add_co_ci_u32_e32 v57, vcc_lo, s13, v57, vcc_lo
	v_fma_f64 v[26:27], v[26:27], v[188:189], -v[94:95]
	v_mul_f64 v[94:95], v[4:5], v[114:115]
	v_fma_f64 v[4:5], v[4:5], v[112:113], v[92:93]
	buffer_store_dword v112, off, s[36:39], 0 offset:88 ; 4-byte Folded Spill
	buffer_store_dword v113, off, s[36:39], 0 offset:92 ; 4-byte Folded Spill
	;; [unrolled: 1-line block ×4, first 2 shown]
	v_fma_f64 v[22:23], v[22:23], v[204:205], -v[98:99]
	v_mul_f64 v[98:99], v[0:1], v[122:123]
	v_fma_f64 v[92:93], v[0:1], v[120:121], v[96:97]
	buffer_store_dword v120, off, s[36:39], 0 offset:72 ; 4-byte Folded Spill
	buffer_store_dword v121, off, s[36:39], 0 offset:76 ; 4-byte Folded Spill
	buffer_store_dword v122, off, s[36:39], 0 offset:80 ; 4-byte Folded Spill
	buffer_store_dword v123, off, s[36:39], 0 offset:84 ; 4-byte Folded Spill
	v_fma_f64 v[18:19], v[18:19], v[200:201], -v[102:103]
	v_mul_f64 v[102:103], v[28:29], v[118:119]
	v_fma_f64 v[14:15], v[14:15], v[176:177], -v[106:107]
	v_mul_f64 v[106:107], v[36:37], v[158:159]
	v_fma_f64 v[28:29], v[28:29], v[116:117], v[100:101]
	buffer_store_dword v116, off, s[36:39], 0 offset:56 ; 4-byte Folded Spill
	buffer_store_dword v117, off, s[36:39], 0 offset:60 ; 4-byte Folded Spill
	;; [unrolled: 1-line block ×4, first 2 shown]
	v_fma_f64 v[36:37], v[36:37], v[156:157], v[104:105]
	buffer_store_dword v156, off, s[36:39], 0 offset:232 ; 4-byte Folded Spill
	buffer_store_dword v157, off, s[36:39], 0 offset:236 ; 4-byte Folded Spill
	buffer_store_dword v158, off, s[36:39], 0 offset:240 ; 4-byte Folded Spill
	buffer_store_dword v159, off, s[36:39], 0 offset:244 ; 4-byte Folded Spill
	v_add_co_u32 v0, vcc_lo, v56, s12
	v_add_co_ci_u32_e32 v1, vcc_lo, s13, v57, vcc_lo
	v_fma_f64 v[10:11], v[10:11], v[128:129], -v[110:111]
	v_add_co_u32 v118, vcc_lo, v0, s2
	v_mul_f64 v[110:111], v[32:33], v[154:155]
	v_fma_f64 v[32:33], v[32:33], v[152:153], v[108:109]
	v_add_co_ci_u32_e32 v119, vcc_lo, s3, v1, vcc_lo
	s_waitcnt vmcnt(32)
	v_mul_f64 v[114:115], v[40:41], v[146:147]
	v_fma_f64 v[6:7], v[6:7], v[112:113], -v[94:95]
	v_mul_f64 v[112:113], v[42:43], v[146:147]
	v_fma_f64 v[94:95], v[2:3], v[120:121], -v[98:99]
	global_load_dwordx4 v[96:99], v[56:57], off
	buffer_store_dword v152, off, s[36:39], 0 offset:216 ; 4-byte Folded Spill
	buffer_store_dword v153, off, s[36:39], 0 offset:220 ; 4-byte Folded Spill
	;; [unrolled: 1-line block ×4, first 2 shown]
	s_waitcnt vmcnt(31)
	v_mul_f64 v[2:3], v[46:47], v[142:143]
	v_add_co_u32 v56, vcc_lo, v118, s12
	v_fma_f64 v[30:31], v[30:31], v[116:117], -v[102:103]
	v_add_co_ci_u32_e32 v57, vcc_lo, s13, v119, vcc_lo
	v_fma_f64 v[38:39], v[38:39], v[156:157], -v[106:107]
	global_load_dwordx4 v[100:103], v[0:1], off
	global_load_dwordx4 v[104:107], v[118:119], off
	v_add_co_u32 v0, vcc_lo, v56, s12
	v_add_co_ci_u32_e32 v1, vcc_lo, s13, v57, vcc_lo
	v_mul_f64 v[116:117], v[44:45], v[142:143]
	s_waitcnt vmcnt(6)
	v_mul_f64 v[118:119], v[78:79], v[223:224]
	v_mul_f64 v[120:121], v[76:77], v[223:224]
	v_fma_f64 v[40:41], v[40:41], v[144:145], v[112:113]
	buffer_store_dword v144, off, s[36:39], 0 offset:184 ; 4-byte Folded Spill
	buffer_store_dword v145, off, s[36:39], 0 offset:188 ; 4-byte Folded Spill
	;; [unrolled: 1-line block ×4, first 2 shown]
	v_fma_f64 v[44:45], v[44:45], v[140:141], v[2:3]
	v_add_co_u32 v2, vcc_lo, v0, s12
	v_add_co_ci_u32_e32 v3, vcc_lo, s13, v1, vcc_lo
	v_fma_f64 v[34:35], v[34:35], v[152:153], -v[110:111]
	global_load_dwordx4 v[108:111], v[56:57], off
	buffer_store_dword v140, off, s[36:39], 0 offset:168 ; 4-byte Folded Spill
	buffer_store_dword v141, off, s[36:39], 0 offset:172 ; 4-byte Folded Spill
	;; [unrolled: 1-line block ×4, first 2 shown]
	ds_write_b128 v212, v[24:27]
	v_mul_f64 v[24:25], v[50:51], v[166:167]
	ds_write_b128 v212, v[20:23] offset:7840
	global_load_dwordx4 v[20:23], v[2:3], off
	v_mul_f64 v[26:27], v[48:49], v[166:167]
	ds_write_b128 v212, v[16:19] offset:15680
	ds_write_b128 v212, v[12:15] offset:23520
	;; [unrolled: 1-line block ×3, first 2 shown]
	v_fma_f64 v[42:43], v[42:43], v[144:145], -v[114:115]
	global_load_dwordx4 v[112:115], v[0:1], off
	v_add_co_u32 v0, vcc_lo, v2, s2
	v_add_co_ci_u32_e32 v1, vcc_lo, s3, v3, vcc_lo
	s_load_dwordx2 s[2:3], s[4:5], 0x38
	v_add_co_u32 v2, vcc_lo, v0, s12
	v_add_co_ci_u32_e32 v3, vcc_lo, s13, v1, vcc_lo
	global_load_dwordx4 v[16:19], v[0:1], off
	v_add_co_u32 v56, vcc_lo, v2, s12
	v_add_co_ci_u32_e32 v57, vcc_lo, s13, v3, vcc_lo
	global_load_dwordx4 v[12:15], v[2:3], off
	v_fma_f64 v[24:25], v[48:49], v[164:165], v[24:25]
	v_mul_f64 v[2:3], v[54:55], v[243:244]
	global_load_dwordx4 v[8:11], v[56:57], off
	buffer_store_dword v164, off, s[36:39], 0 offset:264 ; 4-byte Folded Spill
	buffer_store_dword v165, off, s[36:39], 0 offset:268 ; 4-byte Folded Spill
	;; [unrolled: 1-line block ×4, first 2 shown]
	ds_write_b128 v212, v[4:7] offset:8736
	v_mul_f64 v[6:7], v[62:63], v[239:240]
	ds_write_b128 v212, v[92:95] offset:16576
	v_mul_f64 v[92:93], v[66:67], v[235:236]
	v_add_co_u32 v0, vcc_lo, v56, s12
	v_add_co_ci_u32_e32 v1, vcc_lo, s13, v57, vcc_lo
	v_mul_f64 v[4:5], v[52:53], v[243:244]
	v_mul_f64 v[56:57], v[60:61], v[239:240]
	ds_write_b128 v212, v[28:31] offset:24416
	v_mul_f64 v[94:95], v[64:65], v[235:236]
	ds_write_b128 v212, v[36:39] offset:1792
	v_mul_f64 v[38:39], v[68:69], v[231:232]
	v_fma_f64 v[2:3], v[52:53], v[241:242], v[2:3]
	v_mul_f64 v[52:53], v[74:75], v[227:228]
	v_fma_f64 v[28:29], v[60:61], v[237:238], v[6:7]
	s_waitcnt vmcnt(11)
	v_mul_f64 v[6:7], v[82:83], v[210:211]
	s_waitcnt vmcnt(10)
	v_mul_f64 v[60:61], v[86:87], v[215:216]
	v_fma_f64 v[46:47], v[46:47], v[140:141], -v[116:117]
	v_mul_f64 v[116:117], v[70:71], v[231:232]
	v_fma_f64 v[36:37], v[68:69], v[229:230], v[116:117]
	s_waitcnt vmcnt(8)
	v_mul_f64 v[68:69], v[98:99], v[198:199]
	v_fma_f64 v[26:27], v[50:51], v[164:165], -v[26:27]
	global_load_dwordx4 v[48:51], v[0:1], off
	buffer_store_dword v241, off, s[36:39], 0 offset:560 ; 4-byte Folded Spill
	buffer_store_dword v242, off, s[36:39], 0 offset:564 ; 4-byte Folded Spill
	;; [unrolled: 1-line block ×4, first 2 shown]
	ds_write_b128 v212, v[32:35] offset:9632
	buffer_store_dword v237, off, s[36:39], 0 offset:544 ; 4-byte Folded Spill
	buffer_store_dword v238, off, s[36:39], 0 offset:548 ; 4-byte Folded Spill
	;; [unrolled: 1-line block ×4, first 2 shown]
	ds_write_b128 v212, v[40:43] offset:17472
	v_fma_f64 v[32:33], v[64:65], v[233:234], v[92:93]
	buffer_store_dword v233, off, s[36:39], 0 offset:528 ; 4-byte Folded Spill
	buffer_store_dword v234, off, s[36:39], 0 offset:532 ; 4-byte Folded Spill
	;; [unrolled: 1-line block ×4, first 2 shown]
	ds_write_b128 v212, v[44:47] offset:25312
	buffer_store_dword v229, off, s[36:39], 0 offset:512 ; 4-byte Folded Spill
	buffer_store_dword v230, off, s[36:39], 0 offset:516 ; 4-byte Folded Spill
	buffer_store_dword v231, off, s[36:39], 0 offset:520 ; 4-byte Folded Spill
	buffer_store_dword v232, off, s[36:39], 0 offset:524 ; 4-byte Folded Spill
	v_mul_f64 v[64:65], v[90:91], v[219:220]
	v_mul_f64 v[92:93], v[96:97], v[198:199]
	v_fma_f64 v[40:41], v[76:77], v[221:222], v[118:119]
	v_fma_f64 v[44:45], v[80:81], v[208:209], v[6:7]
	s_waitcnt vmcnt(7)
	v_mul_f64 v[6:7], v[106:107], v[150:151]
	s_waitcnt vmcnt(4)
	v_mul_f64 v[76:77], v[114:115], v[170:171]
	ds_write_b128 v212, v[24:27] offset:2688
	v_fma_f64 v[24:25], v[72:73], v[225:226], v[52:53]
	v_fma_f64 v[52:53], v[84:85], v[213:214], v[60:61]
	;; [unrolled: 1-line block ×5, first 2 shown]
	v_fma_f64 v[4:5], v[54:55], v[241:242], -v[4:5]
	v_mul_f64 v[54:55], v[72:73], v[227:228]
	v_fma_f64 v[30:31], v[62:63], v[237:238], -v[56:57]
	v_mul_f64 v[56:57], v[80:81], v[210:211]
	v_mul_f64 v[62:63], v[84:85], v[215:216]
	v_fma_f64 v[34:35], v[66:67], v[233:234], -v[94:95]
	v_mul_f64 v[66:67], v[88:89], v[219:220]
	v_fma_f64 v[38:39], v[70:71], v[229:230], -v[38:39]
	v_mul_f64 v[70:71], v[102:103], v[186:187]
	buffer_store_dword v225, off, s[36:39], 0 offset:496 ; 4-byte Folded Spill
	buffer_store_dword v226, off, s[36:39], 0 offset:500 ; 4-byte Folded Spill
	;; [unrolled: 1-line block ×24, first 2 shown]
	v_mul_f64 v[94:95], v[100:101], v[186:187]
	v_mul_f64 v[72:73], v[110:111], v[138:139]
	;; [unrolled: 1-line block ×3, first 2 shown]
	s_waitcnt vmcnt(3)
	v_mul_f64 v[84:85], v[18:19], v[134:135]
	s_waitcnt vmcnt(2)
	v_mul_f64 v[88:89], v[14:15], v[162:163]
	;; [unrolled: 2-line block ×3, first 2 shown]
	v_fma_f64 v[68:69], v[100:101], v[184:185], v[70:71]
	buffer_store_dword v184, off, s[36:39], 0 offset:352 ; 4-byte Folded Spill
	buffer_store_dword v185, off, s[36:39], 0 offset:356 ; 4-byte Folded Spill
	;; [unrolled: 1-line block ×4, first 2 shown]
	v_mov_b32_e32 v100, s8
	s_load_dwordx4 s[8:11], s[10:11], 0x0
	ds_write_b128 v212, v[2:5] offset:10528
	v_fma_f64 v[2:3], v[104:105], v[148:149], v[6:7]
	v_fma_f64 v[72:73], v[108:109], v[136:137], v[72:73]
	v_fma_f64 v[26:27], v[74:75], v[225:226], -v[54:55]
	v_mul_f64 v[74:75], v[108:109], v[138:139]
	v_fma_f64 v[46:47], v[82:83], v[208:209], -v[56:57]
	v_fma_f64 v[54:55], v[86:87], v[213:214], -v[62:63]
	;; [unrolled: 1-line block ×4, first 2 shown]
	v_mul_f64 v[92:93], v[10:11], v[174:175]
	v_mul_f64 v[56:57], v[104:105], v[150:151]
	buffer_store_dword v148, off, s[36:39], 0 offset:200 ; 4-byte Folded Spill
	buffer_store_dword v149, off, s[36:39], 0 offset:204 ; 4-byte Folded Spill
	;; [unrolled: 1-line block ×8, first 2 shown]
	v_fma_f64 v[42:43], v[78:79], v[221:222], -v[120:121]
	v_mul_f64 v[78:79], v[112:113], v[170:171]
	buffer_store_dword v168, off, s[36:39], 0 offset:280 ; 4-byte Folded Spill
	buffer_store_dword v169, off, s[36:39], 0 offset:284 ; 4-byte Folded Spill
	buffer_store_dword v170, off, s[36:39], 0 offset:288 ; 4-byte Folded Spill
	buffer_store_dword v171, off, s[36:39], 0 offset:292 ; 4-byte Folded Spill
	v_mul_f64 v[82:83], v[20:21], v[126:127]
	v_fma_f64 v[20:21], v[20:21], v[124:125], v[80:81]
	buffer_store_dword v124, off, s[36:39], 0 offset:104 ; 4-byte Folded Spill
	buffer_store_dword v125, off, s[36:39], 0 offset:108 ; 4-byte Folded Spill
	buffer_store_dword v126, off, s[36:39], 0 offset:112 ; 4-byte Folded Spill
	buffer_store_dword v127, off, s[36:39], 0 offset:116 ; 4-byte Folded Spill
	v_mul_f64 v[86:87], v[16:17], v[134:135]
	v_fma_f64 v[16:17], v[16:17], v[132:133], v[84:85]
	buffer_store_dword v132, off, s[36:39], 0 offset:136 ; 4-byte Folded Spill
	buffer_store_dword v133, off, s[36:39], 0 offset:140 ; 4-byte Folded Spill
	buffer_store_dword v134, off, s[36:39], 0 offset:144 ; 4-byte Folded Spill
	buffer_store_dword v135, off, s[36:39], 0 offset:148 ; 4-byte Folded Spill
	v_mul_f64 v[90:91], v[12:13], v[162:163]
	v_fma_f64 v[12:13], v[12:13], v[160:161], v[88:89]
	buffer_store_dword v160, off, s[36:39], 0 offset:248 ; 4-byte Folded Spill
	buffer_store_dword v161, off, s[36:39], 0 offset:252 ; 4-byte Folded Spill
	;; [unrolled: 1-line block ×4, first 2 shown]
	v_fma_f64 v[70:71], v[102:103], v[184:185], -v[94:95]
	v_mul_f64 v[94:95], v[8:9], v[174:175]
	v_mul_f64 v[98:99], v[48:49], v[182:183]
	v_fma_f64 v[48:49], v[48:49], v[180:181], v[96:97]
	v_fma_f64 v[6:7], v[8:9], v[172:173], v[92:93]
	buffer_store_dword v172, off, s[36:39], 0 offset:296 ; 4-byte Folded Spill
	buffer_store_dword v173, off, s[36:39], 0 offset:300 ; 4-byte Folded Spill
	;; [unrolled: 1-line block ×8, first 2 shown]
	ds_write_b128 v212, v[28:31] offset:18368
	ds_write_b128 v212, v[32:35] offset:26208
	;; [unrolled: 1-line block ×10, first 2 shown]
	v_fma_f64 v[4:5], v[106:107], v[148:149], -v[56:57]
	v_fma_f64 v[74:75], v[110:111], v[136:137], -v[74:75]
	;; [unrolled: 1-line block ×4, first 2 shown]
	ds_write_b128 v212, v[2:5] offset:5376
	ds_write_b128 v212, v[72:75] offset:13216
	;; [unrolled: 1-line block ×4, first 2 shown]
	v_fma_f64 v[18:19], v[18:19], v[132:133], -v[86:87]
	v_fma_f64 v[14:15], v[14:15], v[160:161], -v[90:91]
	;; [unrolled: 1-line block ×4, first 2 shown]
	v_or_b32_e32 v10, 0x1c0, v195
	v_mov_b32_e32 v11, v100
	v_mov_b32_e32 v2, v10
	v_cmp_gt_u64_e32 vcc_lo, 0x1ea, v[10:11]
	buffer_store_dword v2, off, s[36:39], 0 ; 4-byte Folded Spill
	buffer_store_dword v3, off, s[36:39], 0 offset:4 ; 4-byte Folded Spill
	v_lshlrev_b32_e32 v2, 4, v10
	buffer_store_dword v2, off, s[36:39], 0 offset:28 ; 4-byte Folded Spill
	ds_write_b128 v212, v[16:19] offset:6272
	ds_write_b128 v212, v[12:15] offset:14112
	;; [unrolled: 1-line block ×4, first 2 shown]
	s_and_saveexec_b32 s14, vcc_lo
	s_cbranch_execz .LBB0_3
; %bb.2:
	s_clause 0x1
	buffer_load_dword v2, off, s[36:39], 0
	buffer_load_dword v3, off, s[36:39], 0 offset:4
	v_mad_u64_u32 v[10:11], null, 0xffffc640, s0, v[0:1]
	s_mul_i32 s15, s1, 0xffffc640
	s_waitcnt vmcnt(1)
	v_mad_u64_u32 v[8:9], null, s0, v2, 0
	s_sub_i32 s0, s15, s0
	v_add_nc_u32_e32 v11, s0, v11
	v_add_co_u32 v16, s0, v10, s12
	v_mov_b32_e32 v0, v9
	v_add_co_ci_u32_e64 v17, s0, s13, v11, s0
	v_add_co_u32 v24, s0, v16, s12
	v_mad_u64_u32 v[12:13], null, s1, v2, v[0:1]
	buffer_load_dword v0, off, s[36:39], 0 offset:28 ; 4-byte Folded Reload
	v_add_co_ci_u32_e64 v25, s0, s13, v17, s0
	s_waitcnt vmcnt(0)
	global_load_dwordx4 v[0:3], v0, s[6:7]
	global_load_dwordx4 v[4:7], v[10:11], off
	v_mov_b32_e32 v9, v12
	v_lshlrev_b64 v[8:9], 4, v[8:9]
	v_add_co_u32 v28, s0, v58, v8
	v_add_co_ci_u32_e64 v29, s0, v59, v9, s0
	s_clause 0x1
	buffer_load_dword v8, off, s[36:39], 0 offset:40
	buffer_load_dword v9, off, s[36:39], 0 offset:44
	s_waitcnt vmcnt(0)
	global_load_dwordx4 v[8:11], v[8:9], off offset:672
	s_clause 0x1
	buffer_load_dword v12, off, s[36:39], 0 offset:32
	buffer_load_dword v13, off, s[36:39], 0 offset:36
	s_waitcnt vmcnt(0)
	global_load_dwordx4 v[12:15], v[12:13], off offset:320
	global_load_dwordx4 v[16:19], v[16:17], off
	s_clause 0x1
	buffer_load_dword v20, off, s[36:39], 0 offset:48
	buffer_load_dword v21, off, s[36:39], 0 offset:52
	v_mul_f64 v[32:33], v[6:7], v[10:11]
	v_mul_f64 v[10:11], v[4:5], v[10:11]
	s_waitcnt vmcnt(0)
	global_load_dwordx4 v[20:23], v[20:21], off offset:2016
	global_load_dwordx4 v[24:27], v[24:25], off
	global_load_dwordx4 v[28:31], v[28:29], off
	v_mul_f64 v[34:35], v[18:19], v[14:15]
	v_mul_f64 v[14:15], v[16:17], v[14:15]
	s_waitcnt vmcnt(1)
	v_mul_f64 v[36:37], v[26:27], v[22:23]
	s_waitcnt vmcnt(0)
	v_mul_f64 v[38:39], v[30:31], v[2:3]
	v_mul_f64 v[40:41], v[28:29], v[2:3]
	;; [unrolled: 1-line block ×3, first 2 shown]
	v_fma_f64 v[2:3], v[4:5], v[8:9], v[32:33]
	v_fma_f64 v[4:5], v[6:7], v[8:9], -v[10:11]
	v_fma_f64 v[6:7], v[16:17], v[12:13], v[34:35]
	v_fma_f64 v[8:9], v[18:19], v[12:13], -v[14:15]
	v_fma_f64 v[10:11], v[24:25], v[20:21], v[36:37]
	v_fma_f64 v[14:15], v[28:29], v[0:1], v[38:39]
	v_fma_f64 v[16:17], v[30:31], v[0:1], -v[40:41]
	v_fma_f64 v[12:13], v[26:27], v[20:21], -v[22:23]
	ds_write_b128 v212, v[2:5] offset:15008
	ds_write_b128 v212, v[6:9] offset:22848
	;; [unrolled: 1-line block ×4, first 2 shown]
.LBB0_3:
	s_or_b32 exec_lo, exec_lo, s14
	s_waitcnt lgkmcnt(0)
	s_waitcnt_vscnt null, 0x0
	s_barrier
	buffer_gl0_inv
	ds_read_b128 v[128:131], v212
	ds_read_b128 v[112:115], v212 offset:896
	ds_read_b128 v[132:135], v212 offset:7840
	;; [unrolled: 1-line block ×31, first 2 shown]
	s_load_dwordx2 s[4:5], s[4:5], 0x8
                                        ; implicit-def: $vgpr4_vgpr5
                                        ; implicit-def: $vgpr52_vgpr53
                                        ; implicit-def: $vgpr48_vgpr49
                                        ; implicit-def: $vgpr8_vgpr9
	s_and_saveexec_b32 s0, vcc_lo
	s_cbranch_execz .LBB0_5
; %bb.4:
	ds_read_b128 v[4:7], v212 offset:7168
	ds_read_b128 v[8:11], v212 offset:15008
	;; [unrolled: 1-line block ×4, first 2 shown]
.LBB0_5:
	s_or_b32 exec_lo, exec_lo, s0
	s_waitcnt lgkmcnt(0)
	v_add_f64 v[140:141], v[132:133], -v[140:141]
	v_add_f64 v[142:143], v[134:135], -v[142:143]
	;; [unrolled: 1-line block ×4, first 2 shown]
	s_barrier
	buffer_gl0_inv
	v_add_f64 v[120:121], v[112:113], -v[120:121]
	v_add_f64 v[122:123], v[114:115], -v[122:123]
	;; [unrolled: 1-line block ×4, first 2 shown]
	v_add_co_u32 v153, s0, v195, 56
	v_add_f64 v[104:105], v[96:97], -v[104:105]
	v_add_f64 v[106:107], v[98:99], -v[106:107]
	;; [unrolled: 1-line block ×4, first 2 shown]
	v_add_co_u32 v213, null, 0x70, v195
	v_add_f64 v[88:89], v[12:13], -v[88:89]
	v_add_f64 v[90:91], v[14:15], -v[90:91]
	;; [unrolled: 1-line block ×3, first 2 shown]
	v_fma_f64 v[144:145], v[132:133], 2.0, -v[140:141]
	v_fma_f64 v[146:147], v[134:135], 2.0, -v[142:143]
	v_add_f64 v[132:133], v[136:137], -v[142:143]
	v_add_f64 v[134:135], v[138:139], v[140:141]
	v_fma_f64 v[140:141], v[128:129], 2.0, -v[136:137]
	v_fma_f64 v[142:143], v[130:131], 2.0, -v[138:139]
	v_add_f64 v[82:83], v[18:19], -v[82:83]
	v_add_f64 v[76:77], v[28:29], -v[76:77]
	v_add_f64 v[78:79], v[30:31], -v[78:79]
	v_add_f64 v[64:65], v[44:45], -v[64:65]
	v_add_f64 v[66:67], v[46:47], -v[66:67]
	v_add_co_u32 v209, null, 0xa8, v195
	v_add_co_u32 v152, null, 0xe0, v195
	v_fma_f64 v[12:13], v[12:13], 2.0, -v[88:89]
	v_fma_f64 v[14:15], v[14:15], 2.0, -v[90:91]
	;; [unrolled: 1-line block ×4, first 2 shown]
	v_lshlrev_b32_e32 v136, 6, v195
	ds_write_b128 v136, v[132:135] offset:48
	ds_write_b128 v136, v[128:131] offset:16
	v_add_f64 v[128:129], v[140:141], -v[144:145]
	v_add_f64 v[130:131], v[142:143], -v[146:147]
	buffer_store_dword v136, off, s[36:39], 0 offset:592 ; 4-byte Folded Spill
	v_fma_f64 v[44:45], v[44:45], 2.0, -v[64:65]
	v_fma_f64 v[46:47], v[46:47], 2.0, -v[66:67]
	;; [unrolled: 1-line block ×4, first 2 shown]
	ds_write_b128 v136, v[128:131] offset:32
	v_fma_f64 v[128:129], v[112:113], 2.0, -v[120:121]
	v_fma_f64 v[130:131], v[114:115], 2.0, -v[122:123]
	;; [unrolled: 1-line block ×4, first 2 shown]
	ds_write_b128 v136, v[132:135]
	v_add_f64 v[112:113], v[128:129], -v[112:113]
	v_add_f64 v[114:115], v[130:131], -v[114:115]
	v_fma_f64 v[116:117], v[128:129], 2.0, -v[112:113]
	v_fma_f64 v[118:119], v[130:131], 2.0, -v[114:115]
	v_lshlrev_b32_e32 v128, 6, v153
	ds_write_b128 v128, v[116:119]
	v_add_f64 v[116:117], v[120:121], -v[126:127]
	v_add_f64 v[118:119], v[122:123], v[124:125]
	v_fma_f64 v[120:121], v[120:121], 2.0, -v[116:117]
	v_fma_f64 v[122:123], v[122:123], 2.0, -v[118:119]
	ds_write_b128 v128, v[120:123] offset:16
	ds_write_b128 v128, v[112:115] offset:32
	v_fma_f64 v[112:113], v[96:97], 2.0, -v[104:105]
	v_fma_f64 v[114:115], v[98:99], 2.0, -v[106:107]
	;; [unrolled: 1-line block ×4, first 2 shown]
	buffer_store_dword v128, off, s[36:39], 0 offset:644 ; 4-byte Folded Spill
	ds_write_b128 v128, v[116:119] offset:48
	v_lshlrev_b32_e32 v128, 6, v213
	v_add_f64 v[116:117], v[36:37], -v[60:61]
	v_add_f64 v[118:119], v[38:39], -v[62:63]
	buffer_store_dword v128, off, s[36:39], 0 offset:648 ; 4-byte Folded Spill
	v_add_f64 v[96:97], v[112:113], -v[96:97]
	v_add_f64 v[98:99], v[114:115], -v[98:99]
	v_fma_f64 v[124:125], v[36:37], 2.0, -v[116:117]
	v_fma_f64 v[126:127], v[38:39], 2.0, -v[118:119]
	;; [unrolled: 1-line block ×4, first 2 shown]
	v_add_f64 v[112:113], v[32:33], -v[84:85]
	v_add_f64 v[114:115], v[34:35], -v[86:87]
	v_fma_f64 v[84:85], v[16:17], 2.0, -v[80:81]
	v_fma_f64 v[86:87], v[18:19], 2.0, -v[82:83]
	;; [unrolled: 1-line block ×4, first 2 shown]
	ds_write_b128 v128, v[96:99] offset:32
	ds_write_b128 v128, v[100:103]
	v_add_f64 v[100:101], v[104:105], -v[110:111]
	v_add_f64 v[102:103], v[106:107], v[108:109]
	v_add_f64 v[108:109], v[0:1], -v[92:93]
	v_add_f64 v[110:111], v[2:3], -v[94:95]
	v_fma_f64 v[120:121], v[32:33], 2.0, -v[112:113]
	v_fma_f64 v[122:123], v[34:35], 2.0, -v[114:115]
	v_add_f64 v[28:29], v[84:85], -v[16:17]
	v_add_f64 v[30:31], v[86:87], -v[18:19]
	;; [unrolled: 1-line block ×3, first 2 shown]
	v_add_f64 v[34:35], v[82:83], v[76:77]
	v_add_f64 v[18:19], v[10:11], -v[54:55]
	v_add_f64 v[16:17], v[8:9], -v[52:53]
	v_fma_f64 v[92:93], v[104:105], 2.0, -v[100:101]
	v_fma_f64 v[94:95], v[106:107], 2.0, -v[102:103]
	v_add_f64 v[104:105], v[20:21], -v[68:69]
	v_add_f64 v[106:107], v[22:23], -v[70:71]
	;; [unrolled: 1-line block ×4, first 2 shown]
	v_fma_f64 v[0:1], v[0:1], 2.0, -v[108:109]
	v_fma_f64 v[2:3], v[2:3], 2.0, -v[110:111]
	v_add_f64 v[72:73], v[40:41], -v[56:57]
	v_add_co_ci_u32_e64 v56, null, 0, 0, s0
	v_add_f64 v[74:75], v[42:43], -v[58:59]
	v_add_co_u32 v154, s0, 0x118, v195
	v_add_f64 v[44:45], v[120:121], -v[44:45]
	v_add_f64 v[46:47], v[122:123], -v[46:47]
	ds_write_b128 v128, v[100:103] offset:48
	ds_write_b128 v128, v[92:95] offset:16
	v_fma_f64 v[92:93], v[20:21], 2.0, -v[104:105]
	v_fma_f64 v[94:95], v[22:23], 2.0, -v[106:107]
	;; [unrolled: 1-line block ×4, first 2 shown]
	v_add_co_ci_u32_e64 v20, null, 0, 0, s0
	v_add_f64 v[20:21], v[0:1], -v[12:13]
	v_add_f64 v[22:23], v[2:3], -v[14:15]
	v_add_f64 v[12:13], v[4:5], -v[48:49]
	v_add_f64 v[14:15], v[6:7], -v[50:51]
	v_add_f64 v[24:25], v[108:109], -v[90:91]
	v_add_f64 v[26:27], v[110:111], v[88:89]
	v_fma_f64 v[60:61], v[40:41], 2.0, -v[72:73]
	v_fma_f64 v[62:63], v[42:43], 2.0, -v[74:75]
	v_add_f64 v[40:41], v[104:105], -v[70:71]
	v_add_f64 v[42:43], v[106:107], v[68:69]
	v_fma_f64 v[68:69], v[84:85], 2.0, -v[28:29]
	v_fma_f64 v[70:71], v[86:87], 2.0, -v[30:31]
	;; [unrolled: 1-line block ×4, first 2 shown]
	v_add_f64 v[36:37], v[92:93], -v[56:57]
	v_add_f64 v[38:39], v[94:95], -v[58:59]
	;; [unrolled: 1-line block ×3, first 2 shown]
	v_add_f64 v[58:59], v[114:115], v[64:65]
	v_add_f64 v[64:65], v[116:117], -v[74:75]
	v_add_f64 v[66:67], v[118:119], v[72:73]
	v_fma_f64 v[48:49], v[0:1], 2.0, -v[20:21]
	v_fma_f64 v[50:51], v[2:3], 2.0, -v[22:23]
	;; [unrolled: 1-line block ×4, first 2 shown]
	v_add_f64 v[96:97], v[12:13], -v[18:19]
	v_add_f64 v[98:99], v[14:15], v[16:17]
	v_fma_f64 v[52:53], v[108:109], 2.0, -v[24:25]
	v_fma_f64 v[54:55], v[110:111], 2.0, -v[26:27]
	;; [unrolled: 1-line block ×4, first 2 shown]
	v_add_co_u32 v2, s0, 0x150, v195
	v_add_co_ci_u32_e64 v0, null, 0, 0, s0
	v_add_co_u32 v155, s0, 0x188, v195
	v_fma_f64 v[76:77], v[92:93], 2.0, -v[36:37]
	v_fma_f64 v[78:79], v[94:95], 2.0, -v[38:39]
	;; [unrolled: 1-line block ×4, first 2 shown]
	v_add_co_ci_u32_e64 v0, null, 0, 0, s0
	v_lshlrev_b32_e32 v0, 6, v209
	v_lshlrev_b32_e32 v1, 6, v152
	buffer_store_dword v96, off, s[36:39], 0 offset:12 ; 4-byte Folded Spill
	buffer_store_dword v97, off, s[36:39], 0 offset:16 ; 4-byte Folded Spill
	;; [unrolled: 1-line block ×4, first 2 shown]
	ds_write_b128 v0, v[48:51]
	ds_write_b128 v0, v[52:55] offset:16
	ds_write_b128 v0, v[20:23] offset:32
	buffer_store_dword v0, off, s[36:39], 0 offset:732 ; 4-byte Folded Spill
	ds_write_b128 v0, v[24:27] offset:48
	ds_write_b128 v1, v[68:71]
	v_lshlrev_b32_e32 v0, 6, v154
	ds_write_b128 v1, v[72:75] offset:16
	ds_write_b128 v1, v[28:31] offset:32
	buffer_store_dword v1, off, s[36:39], 0 offset:740 ; 4-byte Folded Spill
	ds_write_b128 v1, v[32:35] offset:48
	v_lshlrev_b32_e32 v1, 6, v2
	buffer_store_dword v2, off, s[36:39], 0 offset:652 ; 4-byte Folded Spill
	ds_write_b128 v0, v[76:79]
	ds_write_b128 v0, v[80:83] offset:16
	ds_write_b128 v0, v[36:39] offset:32
	buffer_store_dword v0, off, s[36:39], 0 offset:744 ; 4-byte Folded Spill
	ds_write_b128 v0, v[40:43] offset:48
	ds_write_b128 v1, v[84:87]
	ds_write_b128 v1, v[88:91] offset:16
	ds_write_b128 v1, v[44:47] offset:32
	buffer_store_dword v1, off, s[36:39], 0 offset:752 ; 4-byte Folded Spill
	ds_write_b128 v1, v[56:59] offset:48
	s_clause 0x1
	buffer_load_dword v0, off, s[36:39], 0
	buffer_load_dword v1, off, s[36:39], 0 offset:4
	v_add_f64 v[60:61], v[124:125], -v[60:61]
	v_add_f64 v[62:63], v[126:127], -v[62:63]
	v_fma_f64 v[104:105], v[116:117], 2.0, -v[64:65]
	v_fma_f64 v[106:107], v[118:119], 2.0, -v[66:67]
	v_lshlrev_b32_e32 v2, 6, v155
	v_fma_f64 v[92:93], v[124:125], 2.0, -v[60:61]
	v_fma_f64 v[94:95], v[126:127], 2.0, -v[62:63]
	s_waitcnt vmcnt(1)
	v_lshlrev_b32_e32 v0, 6, v0
	buffer_store_dword v0, off, s[36:39], 0 offset:720 ; 4-byte Folded Spill
	ds_write_b128 v2, v[92:95]
	ds_write_b128 v2, v[104:107] offset:16
	ds_write_b128 v2, v[60:63] offset:32
	buffer_store_dword v2, off, s[36:39], 0 offset:756 ; 4-byte Folded Spill
	ds_write_b128 v2, v[64:67] offset:48
	s_and_saveexec_b32 s0, vcc_lo
	s_cbranch_execz .LBB0_7
; %bb.6:
	s_clause 0x4
	buffer_load_dword v22, off, s[36:39], 0 offset:12
	buffer_load_dword v23, off, s[36:39], 0 offset:16
	;; [unrolled: 1-line block ×5, first 2 shown]
	v_fma_f64 v[20:21], v[6:7], 2.0, -v[14:15]
	v_fma_f64 v[6:7], v[10:11], 2.0, -v[18:19]
	;; [unrolled: 1-line block ×4, first 2 shown]
	v_add_f64 v[6:7], v[20:21], -v[6:7]
	v_add_f64 v[4:5], v[18:19], -v[4:5]
	s_waitcnt vmcnt(1)
	v_fma_f64 v[10:11], v[14:15], 2.0, -v[24:25]
	v_fma_f64 v[8:9], v[12:13], 2.0, -v[22:23]
	;; [unrolled: 1-line block ×4, first 2 shown]
	s_waitcnt vmcnt(0)
	ds_write_b128 v0, v[8:11] offset:16
	ds_write_b128 v0, v[4:7] offset:32
	ds_write_b128 v0, v[12:15]
	ds_write_b128 v0, v[22:25] offset:48
.LBB0_7:
	s_or_b32 exec_lo, exec_lo, s0
	v_and_b32_e32 v164, 3, v195
	s_waitcnt vmcnt(0) lgkmcnt(0)
	s_waitcnt_vscnt null, 0x0
	s_barrier
	buffer_gl0_inv
	s_mov_b32 s12, 0x36b3c0b5
	v_mul_u32_u24_e32 v0, 6, v164
	s_mov_b32 s28, 0xe976ee23
	s_mov_b32 s14, 0x429ad128
	;; [unrolled: 1-line block ×4, first 2 shown]
	v_lshlrev_b32_e32 v0, 4, v0
	s_mov_b32 s29, 0xbfe11646
	s_mov_b32 s15, 0x3febfeb5
	;; [unrolled: 1-line block ×4, first 2 shown]
	s_clause 0x5
	global_load_dwordx4 v[144:147], v0, s[4:5]
	global_load_dwordx4 v[140:143], v0, s[4:5] offset:16
	global_load_dwordx4 v[136:139], v0, s[4:5] offset:32
	;; [unrolled: 1-line block ×5, first 2 shown]
	ds_read_b128 v[4:7], v212 offset:8960
	ds_read_b128 v[24:27], v212 offset:9856
	ds_read_b128 v[44:47], v212 offset:17920
	ds_read_b128 v[12:15], v212 offset:18816
	ds_read_b128 v[36:39], v212 offset:26880
	ds_read_b128 v[8:11], v212 offset:27776
	ds_read_b128 v[40:43], v212 offset:5376
	ds_read_b128 v[16:19], v212 offset:6272
	ds_read_b128 v[32:35], v212 offset:14336
	ds_read_b128 v[20:23], v212 offset:15232
	ds_read_b128 v[28:31], v212 offset:23296
	ds_read_b128 v[48:51], v212 offset:24192
	ds_read_b128 v[52:55], v212 offset:10752
	ds_read_b128 v[60:63], v212 offset:11648
	ds_read_b128 v[64:67], v212 offset:19712
	ds_read_b128 v[68:71], v212 offset:20608
	ds_read_b128 v[76:79], v212 offset:28672
	ds_read_b128 v[72:75], v212 offset:29568
	ds_read_b128 v[88:91], v212 offset:7168
	ds_read_b128 v[80:83], v212 offset:8064
	ds_read_b128 v[120:123], v212 offset:13440
	ds_read_b128 v[84:87], v212 offset:12544
	ds_read_b128 v[100:103], v212 offset:16128
	ds_read_b128 v[92:95], v212 offset:17024
	ds_read_b128 v[128:131], v212 offset:22400
	ds_read_b128 v[96:99], v212 offset:21504
	ds_read_b128 v[112:115], v212 offset:25088
	ds_read_b128 v[104:107], v212 offset:25984
	ds_read_b128 v[108:111], v212 offset:30464
	ds_read_b128 v[56:59], v212
	ds_read_b128 v[116:119], v212 offset:896
	ds_read_b128 v[124:127], v212 offset:1792
	;; [unrolled: 1-line block ×5, first 2 shown]
	buffer_store_dword v195, off, s[36:39], 0 offset:8 ; 4-byte Folded Spill
	s_mov_b32 s20, 0xb247c609
	s_mov_b32 s17, 0x3fe77f67
	;; [unrolled: 1-line block ×11, first 2 shown]
	s_waitcnt vmcnt(5) lgkmcnt(1)
	v_mul_f64 v[169:170], v[167:168], v[146:147]
	v_mul_f64 v[171:172], v[165:166], v[146:147]
	s_waitcnt vmcnt(4)
	v_mul_f64 v[173:174], v[6:7], v[142:143]
	v_mul_f64 v[181:182], v[4:5], v[142:143]
	s_waitcnt vmcnt(3)
	;; [unrolled: 3-line block ×4, first 2 shown]
	v_mul_f64 v[191:192], v[130:131], v[150:151]
	s_waitcnt vmcnt(0)
	v_mul_f64 v[195:196], v[38:39], v[2:3]
	v_mul_f64 v[199:200], v[42:43], v[146:147]
	v_mul_f64 v[203:204], v[26:27], v[142:143]
	v_mul_f64 v[210:211], v[34:35], v[138:139]
	v_mul_f64 v[216:217], v[14:15], v[134:135]
	v_mul_f64 v[193:194], v[128:129], v[150:151]
	v_mul_f64 v[197:198], v[36:37], v[2:3]
	v_mul_f64 v[201:202], v[40:41], v[146:147]
	v_mul_f64 v[205:206], v[24:25], v[142:143]
	v_mul_f64 v[214:215], v[32:33], v[138:139]
	v_mul_f64 v[218:219], v[12:13], v[134:135]
	v_mul_f64 v[220:221], v[30:31], v[150:151]
	v_mul_f64 v[222:223], v[28:29], v[150:151]
	v_mul_f64 v[224:225], v[10:11], v[2:3]
	v_mul_f64 v[226:227], v[8:9], v[2:3]
	v_mul_f64 v[228:229], v[18:19], v[146:147]
	v_mul_f64 v[230:231], v[16:17], v[146:147]
	v_mul_f64 v[232:233], v[54:55], v[142:143]
	v_mul_f64 v[234:235], v[52:53], v[142:143]
	v_mul_f64 v[236:237], v[22:23], v[138:139]
	v_mul_f64 v[238:239], v[20:21], v[138:139]
	v_mul_f64 v[240:241], v[66:67], v[134:135]
	v_mul_f64 v[242:243], v[64:65], v[134:135]
	v_mul_f64 v[244:245], v[50:51], v[150:151]
	v_mul_f64 v[246:247], v[48:49], v[150:151]
	v_mul_f64 v[248:249], v[78:79], v[2:3]
	v_mul_f64 v[250:251], v[76:77], v[2:3]
	v_mul_f64 v[252:253], v[90:91], v[146:147]
	v_mul_f64 v[254:255], v[88:89], v[146:147]
	v_mul_f64 v[179:180], v[62:63], v[142:143]
	v_mul_f64 v[207:208], v[60:61], v[142:143]
	v_fma_f64 v[165:166], v[165:166], v[144:145], -v[169:170]
	v_fma_f64 v[167:168], v[167:168], v[144:145], v[171:172]
	v_mul_f64 v[169:170], v[102:103], v[138:139]
	v_mul_f64 v[171:172], v[100:101], v[138:139]
	v_fma_f64 v[4:5], v[4:5], v[140:141], -v[173:174]
	v_fma_f64 v[6:7], v[6:7], v[140:141], v[181:182]
	v_mul_f64 v[173:174], v[70:71], v[134:135]
	v_mul_f64 v[181:182], v[68:69], v[134:135]
	v_fma_f64 v[120:121], v[120:121], v[136:137], -v[183:184]
	v_fma_f64 v[122:123], v[122:123], v[136:137], v[185:186]
	v_mul_f64 v[183:184], v[114:115], v[150:151]
	v_mul_f64 v[185:186], v[112:113], v[150:151]
	v_fma_f64 v[44:45], v[44:45], v[132:133], -v[187:188]
	v_fma_f64 v[46:47], v[46:47], v[132:133], v[189:190]
	v_mul_f64 v[187:188], v[74:75], v[2:3]
	v_mul_f64 v[189:190], v[72:73], v[2:3]
	v_fma_f64 v[128:129], v[128:129], v[148:149], -v[191:192]
	v_mul_f64 v[191:192], v[82:83], v[146:147]
	v_fma_f64 v[36:37], v[36:37], v[0:1], -v[195:196]
	v_mul_f64 v[195:196], v[86:87], v[142:143]
	;; [unrolled: 2-line block ×6, first 2 shown]
	v_fma_f64 v[130:131], v[130:131], v[148:149], v[193:194]
	v_mul_f64 v[193:194], v[80:81], v[146:147]
	v_fma_f64 v[38:39], v[38:39], v[0:1], v[197:198]
	v_mul_f64 v[197:198], v[84:85], v[142:143]
	v_fma_f64 v[42:43], v[42:43], v[144:145], v[201:202]
	v_mul_f64 v[201:202], v[92:93], v[138:139]
	v_fma_f64 v[26:27], v[26:27], v[140:141], v[205:206]
	v_mul_f64 v[205:206], v[96:97], v[134:135]
	v_fma_f64 v[34:35], v[34:35], v[136:137], v[214:215]
	v_mul_f64 v[214:215], v[104:105], v[150:151]
	v_fma_f64 v[14:15], v[14:15], v[132:133], v[218:219]
	v_mul_f64 v[218:219], v[108:109], v[2:3]
	v_fma_f64 v[28:29], v[28:29], v[148:149], -v[220:221]
	v_fma_f64 v[30:31], v[30:31], v[148:149], v[222:223]
	v_fma_f64 v[8:9], v[8:9], v[0:1], -v[224:225]
	v_fma_f64 v[10:11], v[10:11], v[0:1], v[226:227]
	;; [unrolled: 2-line block ×14, first 2 shown]
	v_fma_f64 v[80:81], v[80:81], v[144:145], -v[191:192]
	buffer_store_dword v144, off, s[36:39], 0 offset:968 ; 4-byte Folded Spill
	buffer_store_dword v145, off, s[36:39], 0 offset:972 ; 4-byte Folded Spill
	buffer_store_dword v146, off, s[36:39], 0 offset:976 ; 4-byte Folded Spill
	buffer_store_dword v147, off, s[36:39], 0 offset:980 ; 4-byte Folded Spill
	v_fma_f64 v[84:85], v[84:85], v[140:141], -v[195:196]
	buffer_store_dword v140, off, s[36:39], 0 offset:628 ; 4-byte Folded Spill
	buffer_store_dword v141, off, s[36:39], 0 offset:632 ; 4-byte Folded Spill
	buffer_store_dword v142, off, s[36:39], 0 offset:636 ; 4-byte Folded Spill
	buffer_store_dword v143, off, s[36:39], 0 offset:640 ; 4-byte Folded Spill
	;; [unrolled: 5-line block ×6, first 2 shown]
	v_add_f64 v[169:170], v[165:166], v[36:37]
	v_add_f64 v[171:172], v[4:5], v[128:129]
	;; [unrolled: 1-line block ×12, first 2 shown]
	v_add_f64 v[4:5], v[4:5], -v[128:129]
	v_add_f64 v[44:45], v[44:45], -v[120:121]
	;; [unrolled: 1-line block ×6, first 2 shown]
	v_add_f64 v[226:227], v[84:85], v[104:105]
	v_add_f64 v[12:13], v[12:13], -v[32:33]
	v_add_f64 v[224:225], v[80:81], v[108:109]
	v_add_f64 v[8:9], v[40:41], -v[8:9]
	v_add_f64 v[14:15], v[14:15], -v[34:35]
	;; [unrolled: 1-line block ×3, first 2 shown]
	v_add_f64 v[179:180], v[167:168], v[38:39]
	v_add_f64 v[203:204], v[18:19], v[78:79]
	;; [unrolled: 1-line block ×7, first 2 shown]
	v_add_f64 v[38:39], v[167:168], -v[38:39]
	v_add_f64 v[28:29], v[52:53], -v[48:49]
	;; [unrolled: 1-line block ×11, first 2 shown]
	v_add_f64 v[62:63], v[171:172], v[169:170]
	v_add_f64 v[66:67], v[187:188], v[185:186]
	v_add_f64 v[78:79], v[226:227], v[224:225]
	v_add_f64 v[84:85], v[173:174], -v[171:172]
	v_add_f64 v[120:121], v[12:13], v[24:25]
	v_add_f64 v[122:123], v[12:13], -v[24:25]
	v_add_f64 v[128:129], v[24:25], -v[8:9]
	;; [unrolled: 1-line block ×9, first 2 shown]
	v_add_f64 v[240:241], v[48:49], v[42:43]
	v_add_f64 v[242:243], v[48:49], -v[42:43]
	v_add_f64 v[254:255], v[52:53], -v[100:101]
	v_add_f64 v[2:3], v[173:174], v[62:63]
	v_mul_f64 v[167:168], v[167:168], s[26:27]
	v_mul_f64 v[242:243], v[242:243], s[28:29]
	v_fma_f64 v[82:83], v[82:83], v[144:145], v[193:194]
	v_add_f64 v[193:194], v[26:27], v[30:31]
	v_fma_f64 v[86:87], v[86:87], v[140:141], v[197:198]
	v_add_f64 v[197:198], v[16:17], v[76:77]
	v_fma_f64 v[94:95], v[94:95], v[136:137], v[201:202]
	v_add_f64 v[26:27], v[26:27], -v[30:31]
	v_fma_f64 v[98:99], v[98:99], v[132:133], v[205:206]
	v_add_f64 v[201:202], v[20:21], v[64:65]
	v_fma_f64 v[106:107], v[106:107], v[148:149], v[214:215]
	v_add_f64 v[214:215], v[60:61], v[112:113]
	;; [unrolled: 2-line block ×3, first 2 shown]
	v_add_f64 v[218:219], v[90:91], v[74:75]
	v_add_f64 v[20:21], v[64:65], -v[20:21]
	v_add_f64 v[16:17], v[16:17], -v[76:77]
	;; [unrolled: 1-line block ×5, first 2 shown]
	v_add_f64 v[90:91], v[44:45], v[4:5]
	v_add_f64 v[92:93], v[44:45], -v[4:5]
	v_add_f64 v[4:5], v[4:5], -v[36:37]
	v_add_f64 v[64:65], v[181:182], v[179:180]
	v_add_f64 v[96:97], v[46:47], -v[6:7]
	v_add_f64 v[68:69], v[193:194], v[191:192]
	;; [unrolled: 2-line block ×4, first 2 shown]
	v_add_f64 v[234:235], v[94:95], v[98:99]
	v_add_f64 v[102:103], v[98:99], -v[94:95]
	v_add_f64 v[60:61], v[86:87], -v[106:107]
	v_add_f64 v[74:75], v[214:215], v[210:211]
	v_add_f64 v[230:231], v[82:83], v[110:111]
	v_add_f64 v[104:105], v[82:83], -v[110:111]
	v_add_f64 v[94:95], v[46:47], v[6:7]
	v_add_f64 v[98:99], v[169:170], -v[173:174]
	v_add_f64 v[110:111], v[189:190], -v[187:188]
	;; [unrolled: 1-line block ×5, first 2 shown]
	v_add_f64 v[232:233], v[86:87], v[106:107]
	v_add_f64 v[72:73], v[205:206], v[203:204]
	v_add_f64 v[82:83], v[171:172], -v[169:170]
	v_add_f64 v[86:87], v[181:182], -v[179:180]
	;; [unrolled: 1-line block ×12, first 2 shown]
	v_add_f64 v[12:13], v[20:21], v[28:29]
	v_add_f64 v[14:15], v[20:21], -v[28:29]
	v_add_f64 v[191:192], v[22:23], v[30:31]
	v_add_f64 v[193:194], v[22:23], -v[30:31]
	v_add_f64 v[199:200], v[203:204], -v[207:208]
	;; [unrolled: 1-line block ×4, first 2 shown]
	v_add_f64 v[20:21], v[34:35], v[32:33]
	v_add_f64 v[22:23], v[34:35], -v[32:33]
	v_add_f64 v[246:247], v[50:51], -v[48:49]
	v_add_f64 v[252:253], v[54:55], v[52:53]
	v_add_f64 v[34:35], v[54:55], -v[52:53]
	v_add_f64 v[48:49], v[102:103], -v[60:61]
	;; [unrolled: 3-line block ×3, first 2 shown]
	v_add_f64 v[54:55], v[189:190], v[66:67]
	v_add_f64 v[60:61], v[195:196], v[68:69]
	;; [unrolled: 1-line block ×7, first 2 shown]
	v_mul_f64 v[70:71], v[92:93], s[28:29]
	v_mul_f64 v[74:75], v[84:85], s[12:13]
	;; [unrolled: 1-line block ×4, first 2 shown]
	v_add_f64 v[94:95], v[120:121], v[8:9]
	v_mul_f64 v[120:121], v[110:111], s[12:13]
	v_mul_f64 v[195:196], v[26:27], s[26:27]
	v_add_f64 v[8:9], v[56:57], v[2:3]
	v_add_f64 v[80:81], v[232:233], v[230:231]
	;; [unrolled: 1-line block ×3, first 2 shown]
	v_mul_f64 v[140:141], v[34:35], s[28:29]
	v_add_f64 v[28:29], v[28:29], -v[16:17]
	v_add_f64 v[30:31], v[30:31], -v[18:19]
	v_add_f64 v[236:237], v[214:215], -v[210:211]
	v_add_f64 v[214:215], v[216:217], -v[214:215]
	v_add_f64 v[238:239], v[220:221], -v[218:219]
	v_add_f64 v[220:221], v[222:223], -v[220:221]
	v_add_f64 v[52:53], v[183:184], v[64:65]
	v_add_f64 v[64:65], v[207:208], v[72:73]
	v_mul_f64 v[72:73], v[96:97], s[28:29]
	v_add_f64 v[197:198], v[197:198], -v[201:202]
	v_add_f64 v[32:33], v[32:33], -v[40:41]
	v_fma_f64 v[4:5], v[4:5], s[14:15], -v[70:71]
	v_fma_f64 v[34:35], v[82:83], s[16:17], -v[74:75]
	;; [unrolled: 1-line block ×4, first 2 shown]
	v_fma_f64 v[44:45], v[44:45], s[20:21], v[70:71]
	v_fma_f64 v[70:71], v[84:85], s[12:13], v[90:91]
	v_fma_f64 v[78:79], v[108:109], s[16:17], -v[120:121]
	v_fma_f64 v[90:91], v[108:109], s[22:23], -v[195:196]
	v_fma_f64 v[108:109], v[110:111], s[12:13], v[195:196]
	buffer_load_dword v196, off, s[36:39], 0 offset:8 ; 4-byte Folded Reload
	v_add_f64 v[183:184], v[234:235], v[80:81]
	v_mul_f64 v[80:81], v[6:7], s[14:15]
	v_add_f64 v[42:43], v[42:43], -v[50:51]
	v_add_f64 v[218:219], v[218:219], -v[222:223]
	;; [unrolled: 1-line block ×5, first 2 shown]
	v_add_f64 v[68:69], v[222:223], v[76:77]
	v_mul_f64 v[76:77], v[88:89], s[12:13]
	v_mul_f64 v[92:93], v[106:107], s[26:27]
	v_add_f64 v[96:97], v[24:25], v[10:11]
	v_mul_f64 v[98:99], v[122:123], s[28:29]
	v_mul_f64 v[106:107], v[130:131], s[28:29]
	;; [unrolled: 1-line block ×5, first 2 shown]
	v_add_f64 v[201:202], v[12:13], v[16:17]
	v_add_f64 v[191:192], v[191:192], v[18:19]
	v_mul_f64 v[207:208], v[14:15], s[28:29]
	v_mul_f64 v[193:194], v[193:194], s[28:29]
	;; [unrolled: 1-line block ×6, first 2 shown]
	v_add_f64 v[132:133], v[20:21], v[40:41]
	v_add_f64 v[134:135], v[240:241], v[50:51]
	v_mul_f64 v[40:41], v[214:215], s[12:13]
	v_mul_f64 v[50:51], v[220:221], s[12:13]
	v_add_f64 v[10:11], v[58:59], v[52:53]
	v_add_f64 v[12:13], v[116:117], v[54:55]
	;; [unrolled: 1-line block ×4, first 2 shown]
	v_fma_f64 v[6:7], v[6:7], s[14:15], -v[72:73]
	v_fma_f64 v[58:59], v[46:47], s[24:25], -v[80:81]
	v_fma_f64 v[46:47], v[46:47], s[20:21], v[72:73]
	v_add_f64 v[210:211], v[210:211], -v[216:217]
	v_mul_f64 v[216:217], v[181:182], s[12:13]
	v_mul_f64 v[197:198], v[197:198], s[26:27]
	v_add_f64 v[16:17], v[124:125], v[62:63]
	v_mul_f64 v[240:241], v[22:23], s[28:29]
	v_mul_f64 v[136:137], v[42:43], s[14:15]
	;; [unrolled: 1-line block ×3, first 2 shown]
	v_add_f64 v[20:21], v[156:157], v[66:67]
	v_add_f64 v[22:23], v[158:159], v[68:69]
	s_waitcnt lgkmcnt(0)
	v_add_f64 v[24:25], v[160:161], v[173:174]
	v_add_f64 v[26:27], v[162:163], v[183:184]
	v_fma_f64 v[48:49], v[86:87], s[16:17], -v[76:77]
	v_fma_f64 v[76:77], v[86:87], s[22:23], -v[92:93]
	v_fma_f64 v[72:73], v[88:89], s[12:13], v[92:93]
	v_fma_f64 v[80:81], v[112:113], s[16:17], -v[122:123]
	v_fma_f64 v[82:83], v[128:129], s[14:15], -v[98:99]
	;; [unrolled: 1-line block ×5, first 2 shown]
	v_fma_f64 v[98:99], v[169:170], s[20:21], v[98:99]
	v_fma_f64 v[106:107], v[171:172], s[20:21], v[106:107]
	;; [unrolled: 1-line block ×3, first 2 shown]
	v_fma_f64 v[114:115], v[185:186], s[16:17], -v[222:223]
	v_fma_f64 v[28:29], v[28:29], s[14:15], -v[207:208]
	;; [unrolled: 1-line block ×5, first 2 shown]
	v_fma_f64 v[128:129], v[203:204], s[20:21], v[207:208]
	v_fma_f64 v[130:131], v[205:206], s[20:21], v[193:194]
	v_fma_f64 v[160:161], v[236:237], s[16:17], -v[40:41]
	v_fma_f64 v[162:163], v[238:239], s[16:17], -v[50:51]
	;; [unrolled: 1-line block ×3, first 2 shown]
	v_fma_f64 v[2:3], v[2:3], s[18:19], v[8:9]
	v_fma_f64 v[42:43], v[52:53], s[18:19], v[10:11]
	;; [unrolled: 1-line block ×11, first 2 shown]
	v_fma_f64 v[92:93], v[112:113], s[22:23], -v[167:168]
	v_fma_f64 v[112:113], v[179:180], s[16:17], -v[216:217]
	;; [unrolled: 1-line block ×4, first 2 shown]
	v_fma_f64 v[156:157], v[181:182], s[12:13], v[197:198]
	v_fma_f64 v[158:159], v[187:188], s[12:13], v[199:200]
	;; [unrolled: 1-line block ×3, first 2 shown]
	v_mul_f64 v[138:139], v[32:33], s[14:15]
	v_fma_f64 v[32:33], v[32:33], s[14:15], -v[240:241]
	v_fma_f64 v[60:61], v[94:95], s[0:1], v[82:83]
	v_fma_f64 v[82:83], v[96:97], s[0:1], v[84:85]
	v_fma_f64 v[84:85], v[94:95], s[0:1], v[86:87]
	v_fma_f64 v[86:87], v[96:97], s[0:1], v[88:89]
	v_fma_f64 v[88:89], v[94:95], s[0:1], v[98:99]
	v_fma_f64 v[94:95], v[96:97], s[0:1], v[106:107]
	v_fma_f64 v[96:97], v[201:202], s[0:1], v[28:29]
	v_fma_f64 v[106:107], v[201:202], s[0:1], v[120:121]
	v_fma_f64 v[120:121], v[191:192], s[0:1], v[122:123]
	v_fma_f64 v[122:123], v[201:202], s[0:1], v[128:129]
	v_fma_f64 v[128:129], v[191:192], s[0:1], v[130:131]
	v_add_f64 v[34:35], v[34:35], v[2:3]
	v_add_f64 v[48:49], v[48:49], v[42:43]
	v_fma_f64 v[130:131], v[66:67], s[18:19], v[20:21]
	v_fma_f64 v[165:166], v[68:69], s[18:19], v[22:23]
	v_add_f64 v[54:55], v[74:75], v[2:3]
	v_add_f64 v[62:63], v[76:77], v[42:43]
	;; [unrolled: 1-line block ×10, first 2 shown]
	v_mul_f64 v[210:211], v[210:211], s[26:27]
	v_mul_f64 v[218:219], v[218:219], s[26:27]
	;; [unrolled: 1-line block ×4, first 2 shown]
	v_fma_f64 v[98:99], v[191:192], s[0:1], v[30:31]
	v_add_f64 v[72:73], v[92:93], v[38:39]
	v_add_f64 v[76:77], v[110:111], v[38:39]
	;; [unrolled: 1-line block ×6, first 2 shown]
	v_fma_f64 v[167:168], v[134:135], s[0:1], v[40:41]
	v_fma_f64 v[169:170], v[132:133], s[0:1], v[32:33]
	v_add_f64 v[28:29], v[34:35], -v[6:7]
	v_add_f64 v[30:31], v[4:5], v[48:49]
	v_add_f64 v[32:33], v[6:7], v[34:35]
	v_add_f64 v[34:35], v[48:49], -v[4:5]
	v_add_f64 v[36:37], v[52:53], v[54:55]
	v_add_f64 v[38:39], v[62:63], -v[50:51]
	v_add_f64 v[40:41], v[54:55], -v[52:53]
	v_add_f64 v[42:43], v[50:51], v[62:63]
	v_add_f64 v[44:45], v[58:59], v[2:3]
	v_add_f64 v[46:47], v[64:65], -v[56:57]
	v_add_f64 v[48:49], v[2:3], -v[58:59]
	v_add_f64 v[50:51], v[56:57], v[64:65]
	v_add_f64 v[52:53], v[66:67], -v[82:83]
	v_add_f64 v[54:55], v[60:61], v[68:69]
	v_add_f64 v[56:57], v[82:83], v[66:67]
	v_add_f64 v[58:59], v[68:69], -v[60:61]
	v_add_f64 v[60:61], v[86:87], v[70:71]
	v_add_f64 v[64:65], v[70:71], -v[86:87]
	;; [unrolled: 2-line block ×3, first 2 shown]
	v_add_f64 v[86:87], v[108:109], -v[106:107]
	v_add_f64 v[90:91], v[106:107], v[108:109]
	v_add_f64 v[2:3], v[104:105], -v[102:103]
	v_mul_f64 v[4:5], v[224:225], s[26:27]
	v_mul_f64 v[6:7], v[175:176], s[14:15]
	;; [unrolled: 1-line block ×4, first 2 shown]
	v_fma_f64 v[108:109], v[246:247], s[24:25], -v[136:137]
	v_add_f64 v[62:63], v[72:73], -v[84:85]
	v_add_f64 v[66:67], v[84:85], v[72:73]
	v_add_f64 v[68:69], v[94:95], v[74:75]
	v_add_f64 v[70:71], v[76:77], -v[88:89]
	v_add_f64 v[72:73], v[74:75], -v[94:95]
	v_add_f64 v[74:75], v[88:89], v[76:77]
	v_add_f64 v[76:77], v[80:81], -v[98:99]
	v_add_f64 v[80:81], v[98:99], v[80:81]
	v_add_f64 v[84:85], v[120:121], v[92:93]
	v_add_f64 v[88:89], v[92:93], -v[120:121]
	v_add_f64 v[92:93], v[128:129], v[110:111]
	v_add_f64 v[94:95], v[112:113], -v[122:123]
	v_add_f64 v[96:97], v[110:111], -v[128:129]
	v_add_f64 v[98:99], v[122:123], v[112:113]
	v_add_f64 v[110:111], v[160:161], v[130:131]
	v_fma_f64 v[112:113], v[244:245], s[24:25], -v[138:139]
	v_fma_f64 v[114:115], v[236:237], s[22:23], -v[210:211]
	;; [unrolled: 1-line block ×3, first 2 shown]
	v_fma_f64 v[122:123], v[214:215], s[12:13], v[210:211]
	v_fma_f64 v[124:125], v[220:221], s[12:13], v[218:219]
	;; [unrolled: 1-line block ×4, first 2 shown]
	v_add_f64 v[136:137], v[252:253], v[100:101]
	v_add_f64 v[138:139], v[177:178], v[104:105]
	v_fma_f64 v[156:157], v[173:174], s[18:19], v[24:25]
	v_fma_f64 v[158:159], v[183:184], s[18:19], v[26:27]
	v_fma_f64 v[104:105], v[248:249], s[16:17], -v[116:117]
	v_fma_f64 v[116:117], v[175:176], s[14:15], -v[142:143]
	;; [unrolled: 1-line block ×7, first 2 shown]
	v_fma_f64 v[175:176], v[134:135], s[0:1], v[108:109]
	v_fma_f64 v[2:3], v[2:3], s[20:21], v[142:143]
	;; [unrolled: 1-line block ×4, first 2 shown]
	v_fma_f64 v[173:174], v[250:251], s[22:23], -v[102:103]
	v_fma_f64 v[4:5], v[226:227], s[12:13], v[4:5]
	v_fma_f64 v[142:143], v[132:133], s[0:1], v[112:113]
	v_add_f64 v[112:113], v[114:115], v[130:131]
	v_add_f64 v[114:115], v[120:121], v[165:166]
	;; [unrolled: 1-line block ×4, first 2 shown]
	v_fma_f64 v[124:125], v[134:135], s[0:1], v[126:127]
	v_fma_f64 v[126:127], v[132:133], s[0:1], v[128:129]
	v_add_f64 v[162:163], v[162:163], v[165:166]
	v_add_f64 v[100:101], v[110:111], -v[167:168]
	v_add_f64 v[128:129], v[104:105], v[156:157]
	v_fma_f64 v[130:131], v[138:139], s[0:1], v[116:117]
	v_add_f64 v[132:133], v[118:119], v[158:159]
	v_fma_f64 v[134:135], v[136:137], s[0:1], v[160:161]
	;; [unrolled: 2-line block ×3, first 2 shown]
	v_fma_f64 v[171:172], v[136:137], s[0:1], v[106:107]
	v_add_f64 v[104:105], v[167:168], v[110:111]
	v_fma_f64 v[2:3], v[138:139], s[0:1], v[2:3]
	v_add_f64 v[138:139], v[108:109], v[158:159]
	v_fma_f64 v[0:1], v[136:137], s[0:1], v[0:1]
	v_add_f64 v[165:166], v[173:174], v[158:159]
	v_add_f64 v[4:5], v[4:5], v[156:157]
	s_waitcnt vmcnt(0)
	s_waitcnt_vscnt null, 0x0
	v_add_f64 v[108:109], v[175:176], v[112:113]
	v_add_f64 v[110:111], v[114:115], -v[142:143]
	v_add_f64 v[112:113], v[112:113], -v[175:176]
	v_add_f64 v[114:115], v[142:143], v[114:115]
	v_add_f64 v[116:117], v[124:125], v[120:121]
	v_add_f64 v[118:119], v[122:123], -v[126:127]
	v_add_f64 v[120:121], v[120:121], -v[124:125]
	v_add_f64 v[122:123], v[126:127], v[122:123]
	v_add_f64 v[102:103], v[169:170], v[162:163]
	v_add_f64 v[124:125], v[128:129], -v[130:131]
	v_add_f64 v[128:129], v[130:131], v[128:129]
	v_add_f64 v[126:127], v[134:135], v[132:133]
	v_add_f64 v[130:131], v[132:133], -v[134:135]
	v_lshrrev_b32_e32 v133, 2, v153
	v_add_f64 v[156:157], v[6:7], v[140:141]
	v_add_f64 v[160:161], v[140:141], -v[6:7]
	v_add_f64 v[106:107], v[162:163], -v[169:170]
	s_barrier
	v_add_f64 v[167:168], v[138:139], -v[0:1]
	v_add_f64 v[6:7], v[0:1], v[138:139]
	v_mul_u32_u24_e32 v0, 28, v133
	v_lshrrev_b32_e32 v1, 2, v213
	v_add_f64 v[158:159], v[165:166], -v[171:172]
	v_add_f64 v[162:163], v[171:172], v[165:166]
	v_add_f64 v[165:166], v[2:3], v[4:5]
	v_or_b32_e32 v0, v0, v164
	v_add_f64 v[4:5], v[4:5], -v[2:3]
	buffer_gl0_inv
	v_lshlrev_b32_e32 v3, 4, v0
	v_mul_u32_u24_e32 v0, 28, v1
	v_lshrrev_b32_e32 v1, 2, v209
	v_or_b32_e32 v0, v0, v164
	v_lshlrev_b32_e32 v215, 4, v0
	v_mul_u32_u24_e32 v0, 28, v1
	v_lshrrev_b32_e32 v1, 2, v152
	v_or_b32_e32 v0, v0, v164
	v_mul_u32_u24_e32 v1, 28, v1
	v_lshrrev_b32_e32 v136, 2, v196
	v_cmp_gt_u16_e64 s0, 28, v196
	v_mul_u32_u24_e32 v132, 28, v136
	v_or_b32_e32 v132, v132, v164
	v_lshlrev_b32_e32 v2, 4, v132
	ds_write_b128 v2, v[8:11]
	ds_write_b128 v2, v[44:47] offset:64
	ds_write_b128 v2, v[36:39] offset:128
	;; [unrolled: 1-line block ×5, first 2 shown]
	buffer_store_dword v2, off, s[36:39], 0 offset:580 ; 4-byte Folded Spill
	ds_write_b128 v2, v[48:51] offset:384
	ds_write_b128 v3, v[12:15]
	ds_write_b128 v3, v[68:71] offset:64
	v_lshlrev_b32_e32 v2, 4, v0
	v_or_b32_e32 v0, v1, v164
	ds_write_b128 v3, v[60:63] offset:128
	ds_write_b128 v3, v[52:55] offset:192
	;; [unrolled: 1-line block ×4, first 2 shown]
	buffer_store_dword v3, off, s[36:39], 0 offset:588 ; 4-byte Folded Spill
	ds_write_b128 v3, v[72:75] offset:384
	v_lshlrev_b32_e32 v0, 4, v0
	ds_write_b128 v215, v[16:19]
	ds_write_b128 v215, v[92:95] offset:64
	ds_write_b128 v215, v[84:87] offset:128
	;; [unrolled: 1-line block ×6, first 2 shown]
	ds_write_b128 v2, v[20:23]
	ds_write_b128 v2, v[116:119] offset:64
	ds_write_b128 v2, v[108:111] offset:128
	;; [unrolled: 1-line block ×5, first 2 shown]
	buffer_store_dword v2, off, s[36:39], 0 offset:584 ; 4-byte Folded Spill
	ds_write_b128 v2, v[120:123] offset:384
	ds_write_b128 v0, v[24:27]
	ds_write_b128 v0, v[165:168] offset:64
	ds_write_b128 v0, v[156:159] offset:128
	;; [unrolled: 1-line block ×5, first 2 shown]
	buffer_store_dword v0, off, s[36:39], 0 offset:576 ; 4-byte Folded Spill
	ds_write_b128 v0, v[4:7] offset:384
	s_waitcnt lgkmcnt(0)
	s_waitcnt_vscnt null, 0x0
	s_barrier
	buffer_gl0_inv
	ds_read_b128 v[20:23], v212
	ds_read_b128 v[0:3], v212 offset:896
	s_waitcnt lgkmcnt(0)
	buffer_store_dword v0, off, s[36:39], 0 offset:656 ; 4-byte Folded Spill
	buffer_store_dword v1, off, s[36:39], 0 offset:660 ; 4-byte Folded Spill
	;; [unrolled: 1-line block ×4, first 2 shown]
	ds_read_b128 v[96:99], v212 offset:16576
	ds_read_b128 v[88:91], v212 offset:17472
	;; [unrolled: 1-line block ×3, first 2 shown]
	s_waitcnt lgkmcnt(0)
	buffer_store_dword v0, off, s[36:39], 0 offset:688 ; 4-byte Folded Spill
	buffer_store_dword v1, off, s[36:39], 0 offset:692 ; 4-byte Folded Spill
	buffer_store_dword v2, off, s[36:39], 0 offset:696 ; 4-byte Folded Spill
	buffer_store_dword v3, off, s[36:39], 0 offset:700 ; 4-byte Folded Spill
	ds_read_b128 v[0:3], v212 offset:2688
	s_waitcnt lgkmcnt(0)
	buffer_store_dword v0, off, s[36:39], 0 offset:672 ; 4-byte Folded Spill
	buffer_store_dword v1, off, s[36:39], 0 offset:676 ; 4-byte Folded Spill
	;; [unrolled: 1-line block ×4, first 2 shown]
	ds_read_b128 v[92:95], v212 offset:18368
	ds_read_b128 v[112:115], v212 offset:19264
	;; [unrolled: 1-line block ×28, first 2 shown]
	v_lshlrev_b32_e32 v0, 2, v196
	buffer_store_dword v0, off, s[36:39], 0 offset:1400 ; 4-byte Folded Spill
	v_lshlrev_b32_e32 v0, 2, v153
	buffer_store_dword v0, off, s[36:39], 0 offset:1464 ; 4-byte Folded Spill
	;; [unrolled: 2-line block ×5, first 2 shown]
	s_and_saveexec_b32 s1, s0
	s_cbranch_execz .LBB0_9
; %bb.8:
	ds_read_b128 v[4:7], v212 offset:15232
	ds_read_b128 v[0:3], v212 offset:30912
	s_waitcnt lgkmcnt(0)
	buffer_store_dword v0, off, s[36:39], 0 offset:12 ; 4-byte Folded Spill
	buffer_store_dword v1, off, s[36:39], 0 offset:16 ; 4-byte Folded Spill
	;; [unrolled: 1-line block ×4, first 2 shown]
.LBB0_9:
	s_or_b32 exec_lo, exec_lo, s1
	v_lshrrev_b16 v0, 2, v152
	v_mov_b32_e32 v3, 0x4925
	buffer_load_dword v8, off, s[36:39], 0 offset:652 ; 4-byte Folded Reload
	v_mov_b32_e32 v210, 4
	v_lshrrev_b16 v34, 2, v154
	v_mov_b32_e32 v208, v152
	v_mul_u32_u24_sdwa v1, v0, v3 dst_sel:DWORD dst_unused:UNUSED_PAD src0_sel:WORD_0 src1_sel:DWORD
	v_add_co_u32 v0, s1, 0xffffffe4, v196
	v_add_co_ci_u32_e64 v2, null, 0, -1, s1
	v_lshrrev_b32_e32 v33, 17, v1
	v_cndmask_b32_e64 v0, v0, v196, s0
	v_mul_u32_u24_sdwa v34, v34, v3 dst_sel:DWORD dst_unused:UNUSED_PAD src0_sel:WORD_0 src1_sel:DWORD
	v_cndmask_b32_e64 v1, v2, 0, s0
	v_lshrrev_b16 v182, 2, v153
	v_mul_lo_u16 v32, v33, 28
	v_lshrrev_b16 v184, 2, v209
	v_lshlrev_b64 v[1:2], 4, v[0:1]
	v_and_b32_e32 v182, 63, v182
	v_sub_nc_u16 v35, v152, v32
	v_add_co_u32 v1, s1, s4, v1
	v_add_co_ci_u32_e64 v2, s1, s5, v2, s1
	v_lshlrev_b32_sdwa v36, v210, v35 dst_sel:DWORD dst_unused:UNUSED_PAD src0_sel:DWORD src1_sel:WORD_0
	v_cmp_lt_u16_e64 s1, 27, v196
	v_mad_u16 v187, v33, 56, v35
	global_load_dwordx4 v[252:255], v[1:2], off offset:384
	v_lshrrev_b32_e32 v2, 17, v34
	global_load_dwordx4 v[203:206], v36, s[4:5] offset:384
	s_clause 0x1
	buffer_load_dword v38, off, s[36:39], 0
	buffer_load_dword v39, off, s[36:39], 0 offset:4
	s_waitcnt vmcnt(4)
	v_lshrrev_b16 v32, 2, v8
	v_mul_u32_u24_sdwa v1, v32, v3 dst_sel:DWORD dst_unused:UNUSED_PAD src0_sel:WORD_0 src1_sel:DWORD
	v_mul_lo_u16 v32, v2, 28
	v_lshrrev_b32_e32 v1, 17, v1
	v_sub_nc_u16 v36, v154, v32
	v_lshrrev_b16 v32, 2, v155
	v_mul_lo_u16 v34, v1, 28
	v_lshlrev_b32_sdwa v37, v210, v36 dst_sel:DWORD dst_unused:UNUSED_PAD src0_sel:DWORD src1_sel:WORD_0
	v_mul_u32_u24_sdwa v32, v32, v3 dst_sel:DWORD dst_unused:UNUSED_PAD src0_sel:WORD_0 src1_sel:DWORD
	v_mad_u16 v188, v2, 56, v36
	v_sub_nc_u16 v34, v8, v34
	global_load_dwordx4 v[232:235], v37, s[4:5] offset:384
	v_mov_b32_e32 v8, v153
	s_waitcnt vmcnt(1)
	v_lshlrev_b32_sdwa v39, v210, v34 dst_sel:DWORD dst_unused:UNUSED_PAD src0_sel:DWORD src1_sel:WORD_0
	v_mad_u16 v189, v1, 56, v34
	global_load_dwordx4 v[224:227], v39, s[4:5] offset:384
	v_add_nc_u16 v39, v196, 0x1f8
	s_waitcnt lgkmcnt(26)
	v_mul_f64 v[33:34], v[114:115], v[205:206]
	v_mov_b32_e32 v135, v38
	v_mul_f64 v[35:36], v[112:113], v[205:206]
	v_lshlrev_b32_sdwa v189, v210, v189 dst_sel:DWORD dst_unused:UNUSED_PAD src0_sel:DWORD src1_sel:WORD_0
	v_lshrrev_b16 v134, 2, v39
	v_lshrrev_b16 v38, 2, v135
	v_mul_u32_u24_sdwa v134, v134, v3 dst_sel:DWORD dst_unused:UNUSED_PAD src0_sel:WORD_0 src1_sel:DWORD
	v_mul_u32_u24_sdwa v37, v38, v3 dst_sel:DWORD dst_unused:UNUSED_PAD src0_sel:WORD_0 src1_sel:DWORD
	v_lshrrev_b32_e32 v38, 17, v32
	v_lshrrev_b32_e32 v134, 17, v134
	;; [unrolled: 1-line block ×3, first 2 shown]
	v_mul_lo_u16 v32, v38, 28
	v_mul_lo_u16 v132, v37, 28
	v_sub_nc_u16 v133, v155, v32
	v_add_nc_u16 v32, v196, 0x230
	v_fma_f64 v[33:34], v[112:113], v[203:204], -v[33:34]
	v_sub_nc_u16 v132, v135, v132
	v_lshlrev_b32_sdwa v135, v210, v133 dst_sel:DWORD dst_unused:UNUSED_PAD src0_sel:DWORD src1_sel:WORD_0
	v_lshrrev_b16 v136, 2, v32
	v_mad_u16 v190, v38, 56, v133
	v_lshlrev_b32_sdwa v137, v210, v132 dst_sel:DWORD dst_unused:UNUSED_PAD src0_sel:DWORD src1_sel:WORD_0
	global_load_dwordx4 v[248:251], v135, s[4:5] offset:384
	v_mul_u32_u24_sdwa v135, v136, v3 dst_sel:DWORD dst_unused:UNUSED_PAD src0_sel:WORD_0 src1_sel:DWORD
	v_mul_lo_u16 v136, v134, 28
	v_mad_u16 v191, v37, 56, v132
	global_load_dwordx4 v[228:231], v137, s[4:5] offset:384
	v_lshrrev_b32_e32 v135, 17, v135
	v_sub_nc_u16 v39, v39, v136
	v_add_nc_u16 v136, v196, 0x2a0
	v_mul_lo_u16 v138, v135, 28
	v_lshrrev_b16 v140, 2, v136
	v_sub_nc_u16 v138, v32, v138
	v_lshlrev_b32_sdwa v32, v210, v39 dst_sel:DWORD dst_unused:UNUSED_PAD src0_sel:DWORD src1_sel:WORD_0
	v_mad_u16 v39, v134, 56, v39
	v_lshlrev_b32_sdwa v141, v210, v138 dst_sel:DWORD dst_unused:UNUSED_PAD src0_sel:DWORD src1_sel:WORD_0
	global_load_dwordx4 v[144:147], v32, s[4:5] offset:384
	v_add_nc_u16 v137, v196, 0x268
	v_mul_u32_u24_sdwa v32, v140, v3 dst_sel:DWORD dst_unused:UNUSED_PAD src0_sel:WORD_0 src1_sel:DWORD
	v_mad_u16 v192, v135, 56, v138
	global_load_dwordx4 v[244:247], v141, s[4:5] offset:384
	v_lshrrev_b16 v139, 2, v137
	v_lshrrev_b32_e32 v140, 17, v32
	v_mul_u32_u24_sdwa v139, v139, v3 dst_sel:DWORD dst_unused:UNUSED_PAD src0_sel:WORD_0 src1_sel:DWORD
	v_mul_lo_u16 v142, v140, 28
	v_lshrrev_b32_e32 v139, 17, v139
	v_sub_nc_u16 v136, v136, v142
	v_mul_lo_u16 v32, v139, 28
	v_lshlrev_b32_sdwa v177, v210, v136 dst_sel:DWORD dst_unused:UNUSED_PAD src0_sel:DWORD src1_sel:WORD_0
	v_mad_u16 v194, v140, 56, v136
	v_sub_nc_u16 v137, v137, v32
	v_add_nc_u16 v32, v196, 0x310
	global_load_dwordx4 v[216:219], v177, s[4:5] offset:384
	v_lshlrev_b32_sdwa v142, v210, v137 dst_sel:DWORD dst_unused:UNUSED_PAD src0_sel:DWORD src1_sel:WORD_0
	v_lshrrev_b16 v176, 2, v32
	v_mad_u16 v193, v139, 56, v137
	global_load_dwordx4 v[220:223], v142, s[4:5] offset:384
	v_add_nc_u16 v141, v196, 0x2d8
	v_mul_u32_u24_sdwa v142, v176, v3 dst_sel:DWORD dst_unused:UNUSED_PAD src0_sel:WORD_0 src1_sel:DWORD
	v_lshrrev_b16 v143, 2, v141
	v_lshrrev_b32_e32 v142, 17, v142
	v_mul_u32_u24_sdwa v143, v143, v3 dst_sel:DWORD dst_unused:UNUSED_PAD src0_sel:WORD_0 src1_sel:DWORD
	v_mul_lo_u16 v178, v142, 28
	v_lshrrev_b32_e32 v143, 17, v143
	v_sub_nc_u16 v178, v32, v178
	v_mul_lo_u16 v176, v143, 28
	v_lshlrev_b32_sdwa v181, v210, v178 dst_sel:DWORD dst_unused:UNUSED_PAD src0_sel:DWORD src1_sel:WORD_0
	v_mad_u16 v178, v142, 56, v178
	v_sub_nc_u16 v141, v141, v176
	v_or_b32_e32 v176, 0x380, v196
	global_load_dwordx4 v[236:239], v181, s[4:5] offset:384
	v_lshlrev_b32_sdwa v32, v210, v141 dst_sel:DWORD dst_unused:UNUSED_PAD src0_sel:DWORD src1_sel:WORD_0
	v_lshrrev_b16 v180, 2, v176
	v_mad_u16 v195, v143, 56, v141
	global_load_dwordx4 v[240:243], v32, s[4:5] offset:384
	v_add_nc_u16 v177, v196, 0x348
	v_mul_u32_u24_sdwa v32, v180, v3 dst_sel:DWORD dst_unused:UNUSED_PAD src0_sel:WORD_0 src1_sel:DWORD
	v_lshrrev_b16 v179, 2, v177
	v_lshrrev_b32_e32 v180, 17, v32
	v_mul_u32_u24_sdwa v179, v179, v3 dst_sel:DWORD dst_unused:UNUSED_PAD src0_sel:WORD_0 src1_sel:DWORD
	v_mul_lo_u16 v183, v180, 28
	v_lshrrev_b32_e32 v179, 17, v179
	v_sub_nc_u16 v176, v176, v183
	v_mul_lo_u16 v32, v179, 28
	v_sub_nc_u16 v177, v177, v32
	v_lshlrev_b32_sdwa v183, v210, v177 dst_sel:DWORD dst_unused:UNUSED_PAD src0_sel:DWORD src1_sel:WORD_0
	v_mad_u16 v177, v179, 56, v177
	global_load_dwordx4 v[152:155], v183, s[4:5] offset:384
	v_add_nc_u16 v181, v196, 0x3b8
	v_lshlrev_b32_sdwa v179, v210, v177 dst_sel:DWORD dst_unused:UNUSED_PAD src0_sel:DWORD src1_sel:WORD_0
	v_lshrrev_b16 v32, 2, v181
	v_mul_u32_u24_sdwa v3, v32, v3 dst_sel:DWORD dst_unused:UNUSED_PAD src0_sel:WORD_0 src1_sel:DWORD
	v_mul_lo_u16 v32, v182, 37
	v_lshlrev_b32_sdwa v182, v210, v176 dst_sel:DWORD dst_unused:UNUSED_PAD src0_sel:DWORD src1_sel:WORD_0
	v_mad_u16 v176, v180, 56, v176
	v_lshlrev_b32_sdwa v180, v210, v178 dst_sel:DWORD dst_unused:UNUSED_PAD src0_sel:DWORD src1_sel:WORD_0
	v_lshrrev_b32_e32 v3, 17, v3
	v_lshrrev_b16 v183, 8, v32
	global_load_dwordx4 v[148:151], v182, s[4:5] offset:384
	v_lshrrev_b16 v32, 2, v213
	v_lshlrev_b32_sdwa v178, v210, v176 dst_sel:DWORD dst_unused:UNUSED_PAD src0_sel:DWORD src1_sel:WORD_0
	v_mul_lo_u16 v3, v3, 28
	v_mul_lo_u16 v182, v183, 28
	v_and_b32_e32 v32, 63, v32
	v_sub_nc_u16 v185, v181, v3
	v_sub_nc_u16 v3, v8, v182
	v_and_b32_e32 v181, 63, v184
	v_mul_lo_u16 v182, v32, 37
	buffer_store_dword v185, off, s[36:39], 0 offset:1832 ; 4-byte Folded Spill
	v_and_b32_e32 v184, 0xff, v3
	v_mul_lo_u16 v3, v181, 37
	v_lshlrev_b32_sdwa v32, v210, v185 dst_sel:DWORD dst_unused:UNUSED_PAD src0_sel:DWORD src1_sel:WORD_0
	v_lshrrev_b16 v181, 8, v182
	v_cndmask_b32_e64 v185, 0, 56, s1
	v_lshlrev_b32_e32 v182, 4, v184
	v_lshrrev_b16 v3, 8, v3
	global_load_dwordx4 v[197:200], v32, s[4:5] offset:384
	v_mul_lo_u16 v186, v181, 28
	v_add_lshl_u32 v201, v0, v185, 4
	global_load_dwordx4 v[8:11], v182, s[4:5] offset:384
	v_mul_lo_u16 v0, v3, 28
	v_mov_b32_e32 v185, 56
	v_sub_nc_u16 v182, v213, v186
	v_sub_nc_u16 v0, v209, v0
	v_mul_u32_u24_sdwa v183, v183, v185 dst_sel:DWORD dst_unused:UNUSED_PAD src0_sel:WORD_0 src1_sel:DWORD
	v_and_b32_e32 v182, 0xff, v182
	v_mul_u32_u24_sdwa v181, v181, v185 dst_sel:DWORD dst_unused:UNUSED_PAD src0_sel:WORD_0 src1_sel:DWORD
	v_mul_u32_u24_sdwa v185, v3, v185 dst_sel:DWORD dst_unused:UNUSED_PAD src0_sel:WORD_0 src1_sel:DWORD
	v_and_b32_e32 v186, 0xff, v0
	s_waitcnt lgkmcnt(3)
	v_mul_f64 v[2:3], v[172:173], v[254:255]
	v_lshlrev_b32_e32 v0, 4, v182
	v_add_lshl_u32 v202, v183, v184, 4
	v_lshlrev_b32_sdwa v184, v210, v192 dst_sel:DWORD dst_unused:UNUSED_PAD src0_sel:DWORD src1_sel:WORD_0
	v_lshlrev_b32_e32 v1, 4, v186
	v_add_lshl_u32 v186, v185, v186, 4
	global_load_dwordx4 v[12:15], v0, s[4:5] offset:384
	v_lshlrev_b32_sdwa v185, v210, v39 dst_sel:DWORD dst_unused:UNUSED_PAD src0_sel:DWORD src1_sel:WORD_0
	v_lshlrev_b32_sdwa v183, v210, v193 dst_sel:DWORD dst_unused:UNUSED_PAD src0_sel:DWORD src1_sel:WORD_0
	global_load_dwordx4 v[16:19], v1, s[4:5] offset:384
	v_mul_f64 v[0:1], v[174:175], v[254:255]
	v_fma_f64 v[0:1], v[172:173], v[252:253], -v[0:1]
	buffer_store_dword v252, off, s[36:39], 0 offset:936 ; 4-byte Folded Spill
	buffer_store_dword v253, off, s[36:39], 0 offset:940 ; 4-byte Folded Spill
	;; [unrolled: 1-line block ×8, first 2 shown]
	v_add_f64 v[0:1], v[20:21], -v[0:1]
	v_fma_f64 v[20:21], v[20:21], 2.0, -v[0:1]
	s_waitcnt vmcnt(15)
	v_mul_f64 v[37:38], v[110:111], v[234:235]
	v_mul_f64 v[132:133], v[108:109], v[234:235]
	s_waitcnt vmcnt(14)
	v_mul_f64 v[112:113], v[106:107], v[226:227]
	v_fma_f64 v[37:38], v[108:109], v[232:233], -v[37:38]
	buffer_store_dword v232, off, s[36:39], 0 offset:856 ; 4-byte Folded Spill
	buffer_store_dword v233, off, s[36:39], 0 offset:860 ; 4-byte Folded Spill
	buffer_store_dword v234, off, s[36:39], 0 offset:864 ; 4-byte Folded Spill
	buffer_store_dword v235, off, s[36:39], 0 offset:868 ; 4-byte Folded Spill
	s_waitcnt vmcnt(8)
	v_mul_f64 v[134:135], v[162:163], v[222:223]
	v_mul_f64 v[136:137], v[160:161], v[222:223]
	v_fma_f64 v[134:135], v[160:161], v[220:221], -v[134:135]
	s_waitcnt vmcnt(6)
	v_mul_f64 v[142:143], v[130:131], v[242:243]
	v_mul_f64 v[160:161], v[128:129], v[242:243]
	v_fma_f64 v[128:129], v[128:129], v[240:241], -v[142:143]
	s_waitcnt vmcnt(5) lgkmcnt(1)
	v_mul_f64 v[142:143], v[126:127], v[154:155]
	v_fma_f64 v[2:3], v[174:175], v[252:253], v[2:3]
	v_fma_f64 v[35:36], v[114:115], v[203:204], v[35:36]
	v_mul_f64 v[114:115], v[104:105], v[226:227]
	v_fma_f64 v[104:105], v[104:105], v[224:225], -v[112:113]
	buffer_store_dword v224, off, s[36:39], 0 offset:824 ; 4-byte Folded Spill
	buffer_store_dword v225, off, s[36:39], 0 offset:828 ; 4-byte Folded Spill
	;; [unrolled: 1-line block ×4, first 2 shown]
	v_mul_f64 v[112:113], v[30:31], v[230:231]
	v_add_f64 v[2:3], v[22:23], -v[2:3]
	v_fma_f64 v[112:113], v[28:29], v[228:229], -v[112:113]
	v_fma_f64 v[22:23], v[22:23], 2.0, -v[2:3]
	v_fma_f64 v[108:109], v[110:111], v[232:233], v[132:133]
	v_mul_f64 v[110:111], v[102:103], v[250:251]
	v_mul_f64 v[132:133], v[100:101], v[250:251]
	v_fma_f64 v[100:101], v[100:101], v[248:249], -v[110:111]
	buffer_store_dword v248, off, s[36:39], 0 offset:904 ; 4-byte Folded Spill
	buffer_store_dword v249, off, s[36:39], 0 offset:908 ; 4-byte Folded Spill
	;; [unrolled: 1-line block ×4, first 2 shown]
	v_mul_f64 v[110:111], v[170:171], v[146:147]
	v_fma_f64 v[110:111], v[168:169], v[144:145], -v[110:111]
	v_fma_f64 v[106:107], v[106:107], v[224:225], v[114:115]
	v_mul_f64 v[114:115], v[28:29], v[230:231]
	buffer_store_dword v228, off, s[36:39], 0 offset:840 ; 4-byte Folded Spill
	buffer_store_dword v229, off, s[36:39], 0 offset:844 ; 4-byte Folded Spill
	buffer_store_dword v230, off, s[36:39], 0 offset:848 ; 4-byte Folded Spill
	buffer_store_dword v231, off, s[36:39], 0 offset:852 ; 4-byte Folded Spill
	v_mul_f64 v[28:29], v[166:167], v[246:247]
	v_fma_f64 v[138:139], v[164:165], v[244:245], -v[28:29]
	v_mul_f64 v[28:29], v[158:159], v[218:219]
	v_fma_f64 v[102:103], v[102:103], v[248:249], v[132:133]
	v_mul_f64 v[132:133], v[168:169], v[146:147]
	buffer_store_dword v144, off, s[36:39], 0 offset:952 ; 4-byte Folded Spill
	buffer_store_dword v145, off, s[36:39], 0 offset:956 ; 4-byte Folded Spill
	buffer_store_dword v146, off, s[36:39], 0 offset:960 ; 4-byte Folded Spill
	buffer_store_dword v147, off, s[36:39], 0 offset:964 ; 4-byte Folded Spill
	v_fma_f64 v[114:115], v[30:31], v[228:229], v[114:115]
	v_mul_f64 v[30:31], v[164:165], v[246:247]
	buffer_store_dword v244, off, s[36:39], 0 offset:920 ; 4-byte Folded Spill
	buffer_store_dword v245, off, s[36:39], 0 offset:924 ; 4-byte Folded Spill
	;; [unrolled: 1-line block ×8, first 2 shown]
	v_fma_f64 v[132:133], v[170:171], v[144:145], v[132:133]
	v_fma_f64 v[140:141], v[166:167], v[244:245], v[30:31]
	v_mul_f64 v[30:31], v[156:157], v[218:219]
	v_fma_f64 v[156:157], v[156:157], v[216:217], -v[28:29]
	buffer_store_dword v216, off, s[36:39], 0 offset:792 ; 4-byte Folded Spill
	buffer_store_dword v217, off, s[36:39], 0 offset:796 ; 4-byte Folded Spill
	;; [unrolled: 1-line block ×8, first 2 shown]
	v_mul_f64 v[28:29], v[122:123], v[238:239]
	v_fma_f64 v[136:137], v[162:163], v[220:221], v[136:137]
	v_fma_f64 v[158:159], v[158:159], v[216:217], v[30:31]
	v_mul_f64 v[30:31], v[120:121], v[238:239]
	v_fma_f64 v[130:131], v[130:131], v[240:241], v[160:161]
	v_mul_f64 v[160:161], v[124:125], v[154:155]
	v_fma_f64 v[120:121], v[120:121], v[236:237], -v[28:29]
	buffer_store_dword v236, off, s[36:39], 0 offset:872 ; 4-byte Folded Spill
	buffer_store_dword v237, off, s[36:39], 0 offset:876 ; 4-byte Folded Spill
	;; [unrolled: 1-line block ×4, first 2 shown]
	v_fma_f64 v[124:125], v[124:125], v[152:153], -v[142:143]
	buffer_store_dword v152, off, s[36:39], 0 offset:1016 ; 4-byte Folded Spill
	buffer_store_dword v153, off, s[36:39], 0 offset:1020 ; 4-byte Folded Spill
	;; [unrolled: 1-line block ×4, first 2 shown]
	s_clause 0x3
	buffer_load_dword v144, off, s[36:39], 0 offset:12
	buffer_load_dword v145, off, s[36:39], 0 offset:16
	;; [unrolled: 1-line block ×4, first 2 shown]
	s_waitcnt vmcnt(8) lgkmcnt(0)
	v_mul_f64 v[28:29], v[118:119], v[150:151]
	v_add_f64 v[120:121], v[84:85], -v[120:121]
	v_add_f64 v[124:125], v[68:69], -v[124:125]
	v_fma_f64 v[162:163], v[116:117], v[148:149], -v[28:29]
	s_waitcnt vmcnt(6)
	v_mul_f64 v[28:29], v[98:99], v[10:11]
	v_fma_f64 v[122:123], v[122:123], v[236:237], v[30:31]
	v_mul_f64 v[30:31], v[116:117], v[150:151]
	v_fma_f64 v[126:127], v[126:127], v[152:153], v[160:161]
	buffer_store_dword v148, off, s[36:39], 0 offset:984 ; 4-byte Folded Spill
	buffer_store_dword v149, off, s[36:39], 0 offset:988 ; 4-byte Folded Spill
	;; [unrolled: 1-line block ×4, first 2 shown]
	s_waitcnt vmcnt(5)
	v_mul_f64 v[116:117], v[90:91], v[14:15]
	s_waitcnt vmcnt(0)
	v_mul_f64 v[142:143], v[146:147], v[199:200]
	v_mul_f64 v[160:161], v[144:145], v[199:200]
	v_add_f64 v[122:123], v[86:87], -v[122:123]
	v_add_f64 v[126:127], v[70:71], -v[126:127]
	v_fma_f64 v[166:167], v[88:89], v[12:13], -v[116:117]
	v_add_f64 v[116:117], v[64:65], -v[128:129]
	v_fma_f64 v[142:143], v[144:145], v[197:198], -v[142:143]
	buffer_store_dword v197, off, s[36:39], 0 offset:1836 ; 4-byte Folded Spill
	buffer_store_dword v198, off, s[36:39], 0 offset:1840 ; 4-byte Folded Spill
	;; [unrolled: 1-line block ×4, first 2 shown]
	v_add_f64 v[128:129], v[72:73], -v[162:163]
	v_add_f64 v[144:145], v[4:5], -v[142:143]
	v_fma_f64 v[168:169], v[118:119], v[148:149], v[30:31]
	v_mul_f64 v[30:31], v[96:97], v[10:11]
	v_mul_f64 v[118:119], v[88:89], v[14:15]
	v_add_f64 v[88:89], v[52:53], -v[104:105]
	v_add_f64 v[104:105], v[76:77], -v[138:139]
	v_fma_f64 v[170:171], v[146:147], v[197:198], v[160:161]
	v_fma_f64 v[160:161], v[96:97], v[8:9], -v[28:29]
	buffer_store_dword v8, off, s[36:39], 0 offset:1256 ; 4-byte Folded Spill
	buffer_store_dword v9, off, s[36:39], 0 offset:1260 ; 4-byte Folded Spill
	;; [unrolled: 1-line block ×4, first 2 shown]
	v_mul_f64 v[28:29], v[94:95], v[18:19]
	s_waitcnt_vscnt null, 0x0
	s_barrier
	buffer_gl0_inv
	buffer_store_dword v12, off, s[36:39], 0 offset:1272 ; 4-byte Folded Spill
	buffer_store_dword v13, off, s[36:39], 0 offset:1276 ; 4-byte Folded Spill
	;; [unrolled: 1-line block ×4, first 2 shown]
	v_add_f64 v[96:97], v[56:57], -v[112:113]
	v_add_f64 v[112:113], v[80:81], -v[156:157]
	v_lshlrev_b32_sdwa v198, v210, v187 dst_sel:DWORD dst_unused:UNUSED_PAD src0_sel:DWORD src1_sel:WORD_0
	v_lshlrev_b32_sdwa v197, v210, v188 dst_sel:DWORD dst_unused:UNUSED_PAD src0_sel:DWORD src1_sel:WORD_0
	;; [unrolled: 1-line block ×4, first 2 shown]
	v_add_lshl_u32 v190, v181, v182, 4
	v_lshlrev_b32_sdwa v182, v210, v194 dst_sel:DWORD dst_unused:UNUSED_PAD src0_sel:DWORD src1_sel:WORD_0
	v_lshlrev_b32_sdwa v181, v210, v195 dst_sel:DWORD dst_unused:UNUSED_PAD src0_sel:DWORD src1_sel:WORD_0
	v_add_f64 v[146:147], v[6:7], -v[170:171]
	v_fma_f64 v[174:175], v[92:93], v[16:17], -v[28:29]
	v_add_f64 v[28:29], v[44:45], -v[33:34]
	v_add_f64 v[33:34], v[40:41], -v[37:38]
	v_fma_f64 v[37:38], v[40:41], 2.0, -v[33:34]
	v_fma_f64 v[164:165], v[98:99], v[8:9], v[30:31]
	v_mul_f64 v[30:31], v[92:93], v[18:19]
	buffer_store_dword v16, off, s[36:39], 0 offset:1288 ; 4-byte Folded Spill
	buffer_store_dword v17, off, s[36:39], 0 offset:1292 ; 4-byte Folded Spill
	;; [unrolled: 1-line block ×4, first 2 shown]
	s_clause 0x3
	buffer_load_dword v8, off, s[36:39], 0 offset:656
	buffer_load_dword v9, off, s[36:39], 0 offset:660
	buffer_load_dword v10, off, s[36:39], 0 offset:664
	buffer_load_dword v11, off, s[36:39], 0 offset:668
	v_add_f64 v[98:99], v[58:59], -v[114:115]
	v_fma_f64 v[172:173], v[90:91], v[12:13], v[118:119]
	v_add_f64 v[114:115], v[82:83], -v[158:159]
	v_add_f64 v[90:91], v[54:55], -v[106:107]
	;; [unrolled: 1-line block ×8, first 2 shown]
	v_fma_f64 v[24:25], v[24:25], 2.0, -v[100:101]
	v_fma_f64 v[176:177], v[94:95], v[16:17], v[30:31]
	s_clause 0x7
	buffer_load_dword v16, off, s[36:39], 0 offset:688
	buffer_load_dword v17, off, s[36:39], 0 offset:692
	;; [unrolled: 1-line block ×8, first 2 shown]
	v_add_f64 v[30:31], v[46:47], -v[35:36]
	s_waitcnt vmcnt(10)
	v_add_f64 v[156:157], v[8:9], -v[160:161]
	s_waitcnt vmcnt(8)
	v_add_f64 v[158:159], v[10:11], -v[164:165]
	v_add_f64 v[35:36], v[42:43], -v[108:109]
	;; [unrolled: 1-line block ×5, first 2 shown]
	ds_write_b128 v201, v[0:3] offset:448
	v_fma_f64 v[0:1], v[44:45], 2.0, -v[28:29]
	buffer_store_dword v201, off, s[36:39], 0 offset:12 ; 4-byte Folded Spill
	ds_write_b128 v201, v[20:23]
	ds_write_b128 v202, v[156:159] offset:448
	v_fma_f64 v[8:9], v[8:9], 2.0, -v[156:157]
	v_fma_f64 v[10:11], v[10:11], 2.0, -v[158:159]
	;; [unrolled: 1-line block ×25, first 2 shown]
	buffer_store_dword v202, off, s[36:39], 0 offset:724 ; 4-byte Folded Spill
	s_waitcnt vmcnt(6)
	v_add_f64 v[160:161], v[16:17], -v[166:167]
	s_waitcnt vmcnt(4)
	v_add_f64 v[162:163], v[18:19], -v[172:173]
	;; [unrolled: 2-line block ×4, first 2 shown]
	v_fma_f64 v[16:17], v[16:17], 2.0, -v[160:161]
	v_fma_f64 v[18:19], v[18:19], 2.0, -v[162:163]
	;; [unrolled: 1-line block ×4, first 2 shown]
	ds_write_b128 v202, v[8:11]
	ds_write_b128 v190, v[16:19]
	buffer_store_dword v190, off, s[36:39], 0 offset:772 ; 4-byte Folded Spill
	ds_write_b128 v190, v[160:163] offset:448
	ds_write_b128 v186, v[12:15]
	buffer_store_dword v186, off, s[36:39], 0 offset:768 ; 4-byte Folded Spill
	ds_write_b128 v186, v[164:167] offset:448
	;; [unrolled: 3-line block ×15, first 2 shown]
	s_and_saveexec_b32 s1, s0
	s_cbranch_execz .LBB0_11
; %bb.10:
	v_fma_f64 v[2:3], v[6:7], 2.0, -v[146:147]
	v_fma_f64 v[0:1], v[4:5], 2.0, -v[144:145]
	ds_write_b128 v32, v[0:3] offset:30464
	ds_write_b128 v32, v[144:147] offset:30912
.LBB0_11:
	s_or_b32 exec_lo, exec_lo, s1
	v_mad_u64_u32 v[132:133], null, 0x60, v196, s[4:5]
	s_waitcnt lgkmcnt(0)
	s_waitcnt_vscnt null, 0x0
	s_barrier
	buffer_gl0_inv
	ds_read_b128 v[0:3], v212
	ds_read_b128 v[92:95], v212 offset:4480
	ds_read_b128 v[96:99], v212 offset:8960
	;; [unrolled: 1-line block ×34, first 2 shown]
	s_mov_b32 s34, 0x37e14327
	s_mov_b32 s18, 0x36b3c0b5
	s_clause 0x5
	global_load_dwordx4 v[134:137], v[132:133], off offset:880
	global_load_dwordx4 v[216:219], v[132:133], off offset:864
	;; [unrolled: 1-line block ×6, first 2 shown]
	s_mov_b32 s30, 0xe976ee23
	s_mov_b32 s16, 0x429ad128
	;; [unrolled: 1-line block ×17, first 2 shown]
	s_add_u32 s12, s6, 0x7a80
	s_addc_u32 s13, s7, 0
	s_waitcnt vmcnt(2) lgkmcnt(33)
	v_mul_f64 v[100:101], v[94:95], v[250:251]
	v_fma_f64 v[196:197], v[92:93], v[248:249], -v[100:101]
	v_mul_f64 v[92:93], v[92:93], v[250:251]
	v_fma_f64 v[198:199], v[94:95], v[248:249], v[92:93]
	s_waitcnt lgkmcnt(32)
	v_mul_f64 v[92:93], v[98:99], v[222:223]
	s_waitcnt lgkmcnt(31)
	v_mul_f64 v[94:95], v[108:109], v[218:219]
	v_fma_f64 v[100:101], v[96:97], v[220:221], -v[92:93]
	v_mul_f64 v[92:93], v[96:97], v[222:223]
	s_waitcnt lgkmcnt(30)
	v_mul_f64 v[96:97], v[114:115], v[136:137]
	v_fma_f64 v[94:95], v[110:111], v[216:217], v[94:95]
	v_fma_f64 v[102:103], v[98:99], v[220:221], v[92:93]
	v_fma_f64 v[96:97], v[112:113], v[134:135], -v[96:97]
	v_mul_f64 v[98:99], v[112:113], v[136:137]
	s_waitcnt lgkmcnt(23)
	v_mul_f64 v[112:113], v[162:163], v[136:137]
	v_mul_f64 v[92:93], v[110:111], v[218:219]
	;; [unrolled: 1-line block ×3, first 2 shown]
	v_fma_f64 v[98:99], v[114:115], v[134:135], v[98:99]
	v_fma_f64 v[112:113], v[160:161], v[134:135], -v[112:113]
	v_mul_f64 v[114:115], v[160:161], v[136:137]
	buffer_store_dword v134, off, s[36:39], 0 offset:1048 ; 4-byte Folded Spill
	buffer_store_dword v135, off, s[36:39], 0 offset:1052 ; 4-byte Folded Spill
	buffer_store_dword v136, off, s[36:39], 0 offset:1056 ; 4-byte Folded Spill
	buffer_store_dword v137, off, s[36:39], 0 offset:1060 ; 4-byte Folded Spill
	v_fma_f64 v[92:93], v[108:109], v[216:217], -v[92:93]
	s_waitcnt vmcnt(0)
	v_mul_f64 v[108:109], v[118:119], v[230:231]
	v_fma_f64 v[110:111], v[158:159], v[216:217], v[110:111]
	v_fma_f64 v[200:201], v[116:117], v[228:229], -v[108:109]
	v_mul_f64 v[108:109], v[116:117], v[230:231]
	v_fma_f64 v[202:203], v[118:119], v[228:229], v[108:109]
	v_mul_f64 v[108:109], v[122:123], v[226:227]
	v_fma_f64 v[204:205], v[120:121], v[224:225], -v[108:109]
	v_mul_f64 v[108:109], v[120:121], v[226:227]
	s_waitcnt lgkmcnt(22)
	v_mul_f64 v[120:121], v[166:167], v[230:231]
	v_fma_f64 v[206:207], v[122:123], v[224:225], v[108:109]
	v_fma_f64 v[188:189], v[164:165], v[228:229], -v[120:121]
	v_mul_f64 v[120:121], v[164:165], v[230:231]
	v_mul_f64 v[108:109], v[126:127], v[250:251]
	v_fma_f64 v[190:191], v[166:167], v[228:229], v[120:121]
	s_waitcnt lgkmcnt(21)
	v_mul_f64 v[120:121], v[90:91], v[226:227]
	v_fma_f64 v[184:185], v[124:125], v[248:249], -v[108:109]
	v_mul_f64 v[108:109], v[124:125], v[250:251]
	v_fma_f64 v[192:193], v[88:89], v[224:225], -v[120:121]
	v_mul_f64 v[88:89], v[88:89], v[226:227]
	v_fma_f64 v[186:187], v[126:127], v[248:249], v[108:109]
	v_mul_f64 v[108:109], v[130:131], v[222:223]
	v_fma_f64 v[194:195], v[90:91], v[224:225], v[88:89]
	v_lshrrev_b16 v88, 3, v213
	v_fma_f64 v[116:117], v[128:129], v[220:221], -v[108:109]
	v_mul_f64 v[108:109], v[128:129], v[222:223]
	v_and_b32_e32 v88, 31, v88
	v_mul_lo_u16 v88, v88, 37
	v_lshrrev_b16 v88, 8, v88
	v_mul_lo_u16 v88, v88, 56
	v_fma_f64 v[118:119], v[130:131], v[220:221], v[108:109]
	v_sub_nc_u16 v88, v213, v88
	v_mul_f64 v[108:109], v[158:159], v[218:219]
	v_and_b32_e32 v211, 0xff, v88
	v_mad_u64_u32 v[88:89], null, 0x60, v211, s[4:5]
	v_lshlrev_b32_e32 v214, 4, v211
	v_fma_f64 v[108:109], v[156:157], v[216:217], -v[108:109]
	v_fma_f64 v[114:115], v[162:163], v[134:135], v[114:115]
	s_clause 0x3
	global_load_dwordx4 v[124:127], v[88:89], off offset:880
	global_load_dwordx4 v[128:131], v[88:89], off offset:864
	;; [unrolled: 1-line block ×4, first 2 shown]
	s_waitcnt vmcnt(0) lgkmcnt(19)
	v_mul_f64 v[90:91], v[86:87], v[134:135]
	v_fma_f64 v[176:177], v[84:85], v[132:133], -v[90:91]
	v_mul_f64 v[84:85], v[84:85], v[134:135]
	buffer_store_dword v132, off, s[36:39], 0 offset:1176 ; 4-byte Folded Spill
	buffer_store_dword v133, off, s[36:39], 0 offset:1180 ; 4-byte Folded Spill
	buffer_store_dword v134, off, s[36:39], 0 offset:1184 ; 4-byte Folded Spill
	buffer_store_dword v135, off, s[36:39], 0 offset:1188 ; 4-byte Folded Spill
	v_fma_f64 v[178:179], v[86:87], v[132:133], v[84:85]
	s_waitcnt lgkmcnt(18)
	v_mul_f64 v[84:85], v[82:83], v[122:123]
	v_fma_f64 v[172:173], v[80:81], v[120:121], -v[84:85]
	v_mul_f64 v[80:81], v[80:81], v[122:123]
	buffer_store_dword v120, off, s[36:39], 0 offset:1128 ; 4-byte Folded Spill
	buffer_store_dword v121, off, s[36:39], 0 offset:1132 ; 4-byte Folded Spill
	buffer_store_dword v122, off, s[36:39], 0 offset:1136 ; 4-byte Folded Spill
	buffer_store_dword v123, off, s[36:39], 0 offset:1140 ; 4-byte Folded Spill
	v_fma_f64 v[174:175], v[82:83], v[120:121], v[80:81]
	s_waitcnt lgkmcnt(17)
	;; [unrolled: 9-line block ×3, first 2 shown]
	v_mul_f64 v[76:77], v[62:63], v[126:127]
	v_fma_f64 v[168:169], v[60:61], v[124:125], -v[76:77]
	v_mul_f64 v[60:61], v[60:61], v[126:127]
	buffer_store_dword v124, off, s[36:39], 0 offset:1064 ; 4-byte Folded Spill
	buffer_store_dword v125, off, s[36:39], 0 offset:1068 ; 4-byte Folded Spill
	;; [unrolled: 1-line block ×4, first 2 shown]
	s_clause 0x1
	global_load_dwordx4 v[76:79], v[88:89], off offset:912
	global_load_dwordx4 v[80:83], v[88:89], off offset:896
	v_fma_f64 v[170:171], v[62:63], v[124:125], v[60:61]
	s_waitcnt vmcnt(0) lgkmcnt(15)
	v_mul_f64 v[60:61], v[58:59], v[82:83]
	v_fma_f64 v[180:181], v[56:57], v[80:81], -v[60:61]
	v_mul_f64 v[56:57], v[56:57], v[82:83]
	buffer_store_dword v80, off, s[36:39], 0 offset:1160 ; 4-byte Folded Spill
	buffer_store_dword v81, off, s[36:39], 0 offset:1164 ; 4-byte Folded Spill
	;; [unrolled: 1-line block ×4, first 2 shown]
	v_fma_f64 v[56:57], v[58:59], v[80:81], v[56:57]
	s_waitcnt lgkmcnt(14)
	v_mul_f64 v[58:59], v[54:55], v[78:79]
	v_fma_f64 v[58:59], v[52:53], v[76:77], -v[58:59]
	v_mul_f64 v[52:53], v[52:53], v[78:79]
	buffer_store_dword v76, off, s[36:39], 0 offset:1112 ; 4-byte Folded Spill
	buffer_store_dword v77, off, s[36:39], 0 offset:1116 ; 4-byte Folded Spill
	;; [unrolled: 1-line block ×4, first 2 shown]
	v_fma_f64 v[182:183], v[54:55], v[76:77], v[52:53]
	v_lshrrev_b16 v52, 3, v209
	v_and_b32_e32 v52, 31, v52
	v_mul_lo_u16 v52, v52, 37
	v_lshrrev_b16 v52, 8, v52
	v_mul_lo_u16 v52, v52, 56
	v_sub_nc_u16 v52, v209, v52
	v_and_b32_e32 v209, 0xff, v52
	v_mad_u64_u32 v[54:55], null, 0x60, v209, s[4:5]
	s_clause 0x3
	global_load_dwordx4 v[60:63], v[54:55], off offset:880
	global_load_dwordx4 v[76:79], v[54:55], off offset:864
	global_load_dwordx4 v[80:83], v[54:55], off offset:848
	global_load_dwordx4 v[84:87], v[54:55], off offset:832
	s_waitcnt vmcnt(0) lgkmcnt(12)
	v_mul_f64 v[52:53], v[50:51], v[86:87]
	v_fma_f64 v[52:53], v[48:49], v[84:85], -v[52:53]
	v_mul_f64 v[48:49], v[48:49], v[86:87]
	buffer_store_dword v84, off, s[36:39], 0 offset:1240 ; 4-byte Folded Spill
	buffer_store_dword v85, off, s[36:39], 0 offset:1244 ; 4-byte Folded Spill
	buffer_store_dword v86, off, s[36:39], 0 offset:1248 ; 4-byte Folded Spill
	buffer_store_dword v87, off, s[36:39], 0 offset:1252 ; 4-byte Folded Spill
	v_fma_f64 v[50:51], v[50:51], v[84:85], v[48:49]
	s_waitcnt lgkmcnt(11)
	v_mul_f64 v[48:49], v[46:47], v[82:83]
	v_fma_f64 v[48:49], v[44:45], v[80:81], -v[48:49]
	v_mul_f64 v[44:45], v[44:45], v[82:83]
	buffer_store_dword v80, off, s[36:39], 0 offset:1208 ; 4-byte Folded Spill
	buffer_store_dword v81, off, s[36:39], 0 offset:1212 ; 4-byte Folded Spill
	buffer_store_dword v82, off, s[36:39], 0 offset:1216 ; 4-byte Folded Spill
	buffer_store_dword v83, off, s[36:39], 0 offset:1220 ; 4-byte Folded Spill
	v_fma_f64 v[46:47], v[46:47], v[80:81], v[44:45]
	s_waitcnt lgkmcnt(10)
	;; [unrolled: 9-line block ×3, first 2 shown]
	v_mul_f64 v[42:43], v[38:39], v[62:63]
	v_fma_f64 v[42:43], v[36:37], v[60:61], -v[42:43]
	v_mul_f64 v[36:37], v[36:37], v[62:63]
	buffer_store_dword v60, off, s[36:39], 0 offset:1096 ; 4-byte Folded Spill
	buffer_store_dword v61, off, s[36:39], 0 offset:1100 ; 4-byte Folded Spill
	;; [unrolled: 1-line block ×4, first 2 shown]
	v_fma_f64 v[36:37], v[38:39], v[60:61], v[36:37]
	s_clause 0x1
	global_load_dwordx4 v[60:63], v[54:55], off offset:912
	global_load_dwordx4 v[76:79], v[54:55], off offset:896
	s_waitcnt vmcnt(0) lgkmcnt(8)
	v_mul_f64 v[38:39], v[34:35], v[78:79]
	v_fma_f64 v[38:39], v[32:33], v[76:77], -v[38:39]
	v_mul_f64 v[32:33], v[32:33], v[78:79]
	buffer_store_dword v76, off, s[36:39], 0 offset:1224 ; 4-byte Folded Spill
	buffer_store_dword v77, off, s[36:39], 0 offset:1228 ; 4-byte Folded Spill
	;; [unrolled: 1-line block ×4, first 2 shown]
	v_fma_f64 v[32:33], v[34:35], v[76:77], v[32:33]
	s_waitcnt lgkmcnt(7)
	v_mul_f64 v[34:35], v[30:31], v[62:63]
	v_fma_f64 v[34:35], v[28:29], v[60:61], -v[34:35]
	v_mul_f64 v[28:29], v[28:29], v[62:63]
	buffer_store_dword v60, off, s[36:39], 0 offset:1192 ; 4-byte Folded Spill
	buffer_store_dword v61, off, s[36:39], 0 offset:1196 ; 4-byte Folded Spill
	buffer_store_dword v62, off, s[36:39], 0 offset:1200 ; 4-byte Folded Spill
	buffer_store_dword v63, off, s[36:39], 0 offset:1204 ; 4-byte Folded Spill
	v_fma_f64 v[54:55], v[30:31], v[60:61], v[28:29]
	v_lshrrev_b16 v28, 3, v208
	v_mov_b32_e32 v29, 0x2493
	v_mul_u32_u24_sdwa v28, v28, v29 dst_sel:DWORD dst_unused:UNUSED_PAD src0_sel:WORD_0 src1_sel:DWORD
	v_lshrrev_b32_e32 v28, 16, v28
	v_mul_lo_u16 v28, v28, 56
	v_sub_nc_u16 v208, v208, v28
	v_mul_lo_u16 v28, 0x60, v208
	v_and_b32_e32 v28, 0xffff, v28
	v_add_co_u32 v28, s1, s4, v28
	v_add_co_ci_u32_e64 v29, null, s5, 0, s1
	s_clause 0x3
	global_load_dwordx4 v[76:79], v[28:29], off offset:880
	global_load_dwordx4 v[80:83], v[28:29], off offset:864
	;; [unrolled: 1-line block ×4, first 2 shown]
	s_waitcnt vmcnt(0) lgkmcnt(5)
	v_mul_f64 v[30:31], v[26:27], v[86:87]
	v_fma_f64 v[156:157], v[24:25], v[84:85], -v[30:31]
	v_mul_f64 v[24:25], v[24:25], v[86:87]
	buffer_store_dword v84, off, s[36:39], 0 offset:1368 ; 4-byte Folded Spill
	buffer_store_dword v85, off, s[36:39], 0 offset:1372 ; 4-byte Folded Spill
	;; [unrolled: 1-line block ×4, first 2 shown]
	v_fma_f64 v[158:159], v[26:27], v[84:85], v[24:25]
	s_waitcnt lgkmcnt(4)
	v_mul_f64 v[24:25], v[22:23], v[62:63]
	v_add_f64 v[26:27], v[98:99], -v[94:95]
	v_fma_f64 v[128:129], v[20:21], v[60:61], -v[24:25]
	v_mul_f64 v[20:21], v[20:21], v[62:63]
	buffer_store_dword v60, off, s[36:39], 0 offset:1336 ; 4-byte Folded Spill
	buffer_store_dword v61, off, s[36:39], 0 offset:1340 ; 4-byte Folded Spill
	;; [unrolled: 1-line block ×4, first 2 shown]
	v_add_f64 v[24:25], v[96:97], -v[92:93]
	v_fma_f64 v[130:131], v[22:23], v[60:61], v[20:21]
	s_waitcnt lgkmcnt(3)
	v_mul_f64 v[20:21], v[18:19], v[82:83]
	v_add_f64 v[22:23], v[94:95], v[98:99]
	v_fma_f64 v[60:61], v[16:17], v[80:81], -v[20:21]
	v_mul_f64 v[16:17], v[16:17], v[82:83]
	buffer_store_dword v80, off, s[36:39], 0 offset:1320 ; 4-byte Folded Spill
	buffer_store_dword v81, off, s[36:39], 0 offset:1324 ; 4-byte Folded Spill
	;; [unrolled: 1-line block ×4, first 2 shown]
	v_fma_f64 v[62:63], v[18:19], v[80:81], v[16:17]
	s_waitcnt lgkmcnt(2)
	v_mul_f64 v[16:17], v[14:15], v[78:79]
	v_fma_f64 v[124:125], v[12:13], v[76:77], -v[16:17]
	v_mul_f64 v[12:13], v[12:13], v[78:79]
	buffer_store_dword v76, off, s[36:39], 0 offset:1304 ; 4-byte Folded Spill
	buffer_store_dword v77, off, s[36:39], 0 offset:1308 ; 4-byte Folded Spill
	;; [unrolled: 1-line block ×4, first 2 shown]
	v_fma_f64 v[126:127], v[14:15], v[76:77], v[12:13]
	s_clause 0x1
	global_load_dwordx4 v[14:17], v[28:29], off offset:912
	global_load_dwordx4 v[18:21], v[28:29], off offset:896
	s_waitcnt vmcnt(0) lgkmcnt(1)
	v_mul_f64 v[12:13], v[10:11], v[20:21]
	v_fma_f64 v[160:161], v[8:9], v[18:19], -v[12:13]
	v_mul_f64 v[8:9], v[8:9], v[20:21]
	buffer_store_dword v18, off, s[36:39], 0 offset:1384 ; 4-byte Folded Spill
	buffer_store_dword v19, off, s[36:39], 0 offset:1388 ; 4-byte Folded Spill
	;; [unrolled: 1-line block ×4, first 2 shown]
	v_add_f64 v[12:13], v[100:101], v[200:201]
	v_add_f64 v[20:21], v[92:93], v[96:97]
	v_fma_f64 v[162:163], v[10:11], v[18:19], v[8:9]
	s_waitcnt lgkmcnt(0)
	v_mul_f64 v[8:9], v[6:7], v[16:17]
	v_add_f64 v[10:11], v[198:199], -v[206:207]
	v_add_f64 v[18:19], v[102:103], -v[202:203]
	v_fma_f64 v[164:165], v[4:5], v[14:15], -v[8:9]
	v_mul_f64 v[4:5], v[4:5], v[16:17]
	buffer_store_dword v14, off, s[36:39], 0 offset:1352 ; 4-byte Folded Spill
	buffer_store_dword v15, off, s[36:39], 0 offset:1356 ; 4-byte Folded Spill
	;; [unrolled: 1-line block ×4, first 2 shown]
	v_add_f64 v[8:9], v[196:197], -v[204:205]
	v_add_f64 v[16:17], v[100:101], -v[200:201]
	v_add_f64 v[78:79], v[26:27], v[18:19]
	v_add_f64 v[86:87], v[26:27], -v[18:19]
	v_add_f64 v[18:19], v[18:19], -v[10:11]
	;; [unrolled: 1-line block ×3, first 2 shown]
	s_waitcnt_vscnt null, 0x0
	s_barrier
	buffer_gl0_inv
	v_add_f64 v[76:77], v[24:25], v[16:17]
	v_add_f64 v[84:85], v[24:25], -v[16:17]
	v_add_f64 v[16:17], v[16:17], -v[8:9]
	;; [unrolled: 1-line block ×3, first 2 shown]
	v_add_f64 v[10:11], v[78:79], v[10:11]
	v_add_f64 v[8:9], v[76:77], v[8:9]
	v_fma_f64 v[166:167], v[6:7], v[14:15], v[4:5]
	v_add_f64 v[4:5], v[196:197], v[204:205]
	v_add_f64 v[6:7], v[198:199], v[206:207]
	;; [unrolled: 1-line block ×3, first 2 shown]
	v_lshlrev_b32_e32 v199, 4, v209
	v_lshlrev_b32_sdwa v198, v210, v208 dst_sel:DWORD dst_unused:UNUSED_PAD src0_sel:DWORD src1_sel:WORD_0
	v_add_f64 v[28:29], v[12:13], v[4:5]
	v_add_f64 v[80:81], v[12:13], -v[4:5]
	v_add_f64 v[30:31], v[14:15], v[6:7]
	v_add_f64 v[82:83], v[14:15], -v[6:7]
	v_add_f64 v[4:5], v[4:5], -v[20:21]
	v_add_f64 v[6:7], v[6:7], -v[22:23]
	v_add_f64 v[12:13], v[20:21], -v[12:13]
	v_add_f64 v[14:15], v[22:23], -v[14:15]
	v_add_f64 v[20:21], v[20:21], v[28:29]
	v_mul_f64 v[28:29], v[84:85], s[30:31]
	v_add_f64 v[22:23], v[22:23], v[30:31]
	v_mul_f64 v[30:31], v[86:87], s[30:31]
	v_mul_f64 v[84:85], v[16:17], s[16:17]
	;; [unrolled: 1-line block ×3, first 2 shown]
	v_add_f64 v[76:77], v[0:1], v[20:21]
	v_mul_f64 v[0:1], v[4:5], s[34:35]
	v_add_f64 v[78:79], v[2:3], v[22:23]
	v_mul_f64 v[2:3], v[6:7], s[34:35]
	v_mul_f64 v[4:5], v[12:13], s[18:19]
	;; [unrolled: 1-line block ×3, first 2 shown]
	v_fma_f64 v[16:17], v[16:17], s[16:17], -v[28:29]
	v_fma_f64 v[18:19], v[18:19], s[16:17], -v[30:31]
	v_fma_f64 v[20:21], v[20:21], s[28:29], v[76:77]
	v_fma_f64 v[12:13], v[12:13], s[18:19], v[0:1]
	;; [unrolled: 1-line block ×4, first 2 shown]
	v_fma_f64 v[4:5], v[80:81], s[20:21], -v[4:5]
	v_fma_f64 v[6:7], v[82:83], s[20:21], -v[6:7]
	;; [unrolled: 1-line block ×4, first 2 shown]
	v_fma_f64 v[80:81], v[24:25], s[24:25], v[28:29]
	v_fma_f64 v[82:83], v[26:27], s[24:25], v[30:31]
	v_fma_f64 v[24:25], v[24:25], s[26:27], -v[84:85]
	v_fma_f64 v[26:27], v[26:27], s[26:27], -v[86:87]
	v_fma_f64 v[16:17], v[8:9], s[14:15], v[16:17]
	v_fma_f64 v[18:19], v[10:11], s[14:15], v[18:19]
	v_add_f64 v[12:13], v[12:13], v[20:21]
	v_add_f64 v[14:15], v[14:15], v[22:23]
	;; [unrolled: 1-line block ×6, first 2 shown]
	v_fma_f64 v[20:21], v[8:9], s[14:15], v[80:81]
	v_fma_f64 v[22:23], v[10:11], s[14:15], v[82:83]
	;; [unrolled: 1-line block ×4, first 2 shown]
	v_add_f64 v[92:93], v[4:5], -v[18:19]
	v_add_f64 v[94:95], v[16:17], v[6:7]
	v_add_f64 v[88:89], v[18:19], v[4:5]
	v_add_f64 v[90:91], v[6:7], -v[16:17]
	v_add_f64 v[102:103], v[14:15], -v[20:21]
	v_add_f64 v[100:101], v[22:23], v[12:13]
	v_add_f64 v[98:99], v[2:3], -v[8:9]
	v_add_f64 v[96:97], v[10:11], v[0:1]
	v_add_f64 v[84:85], v[0:1], -v[10:11]
	v_add_f64 v[86:87], v[8:9], v[2:3]
	v_add_f64 v[0:1], v[184:185], v[192:193]
	v_add_f64 v[2:3], v[186:187], v[194:195]
	;; [unrolled: 1-line block ×4, first 2 shown]
	v_add_f64 v[80:81], v[12:13], -v[22:23]
	v_add_f64 v[82:83], v[20:21], v[14:15]
	v_add_f64 v[4:5], v[184:185], -v[192:193]
	v_add_f64 v[6:7], v[186:187], -v[194:195]
	;; [unrolled: 1-line block ×4, first 2 shown]
	v_add_f64 v[16:17], v[108:109], v[112:113]
	v_add_f64 v[18:19], v[110:111], v[114:115]
	v_add_f64 v[20:21], v[112:113], -v[108:109]
	v_add_f64 v[22:23], v[114:115], -v[110:111]
	v_add_f64 v[24:25], v[8:9], v[0:1]
	v_add_f64 v[26:27], v[10:11], v[2:3]
	v_add_f64 v[28:29], v[8:9], -v[0:1]
	v_add_f64 v[30:31], v[10:11], -v[2:3]
	;; [unrolled: 1-line block ×6, first 2 shown]
	v_add_f64 v[0:1], v[20:21], v[12:13]
	v_add_f64 v[2:3], v[22:23], v[14:15]
	v_add_f64 v[112:113], v[20:21], -v[12:13]
	v_add_f64 v[114:115], v[22:23], -v[14:15]
	;; [unrolled: 1-line block ×6, first 2 shown]
	v_add_f64 v[16:17], v[16:17], v[24:25]
	v_add_f64 v[18:19], v[18:19], v[26:27]
	v_mul_f64 v[24:25], v[108:109], s[34:35]
	v_mul_f64 v[26:27], v[110:111], s[34:35]
	v_add_f64 v[4:5], v[0:1], v[4:5]
	v_add_f64 v[6:7], v[2:3], v[6:7]
	v_mul_f64 v[108:109], v[112:113], s[30:31]
	v_mul_f64 v[110:111], v[114:115], s[30:31]
	;; [unrolled: 1-line block ×4, first 2 shown]
	v_add_f64 v[0:1], v[104:105], v[16:17]
	v_add_f64 v[2:3], v[106:107], v[18:19]
	v_mul_f64 v[104:105], v[8:9], s[18:19]
	v_mul_f64 v[106:107], v[10:11], s[18:19]
	v_fma_f64 v[8:9], v[8:9], s[18:19], v[24:25]
	v_fma_f64 v[10:11], v[10:11], s[18:19], v[26:27]
	v_fma_f64 v[24:25], v[28:29], s[22:23], -v[24:25]
	v_fma_f64 v[26:27], v[30:31], s[22:23], -v[26:27]
	;; [unrolled: 1-line block ×4, first 2 shown]
	v_fma_f64 v[16:17], v[16:17], s[28:29], v[0:1]
	v_fma_f64 v[18:19], v[18:19], s[28:29], v[2:3]
	v_fma_f64 v[104:105], v[28:29], s[20:21], -v[104:105]
	v_fma_f64 v[106:107], v[30:31], s[20:21], -v[106:107]
	v_fma_f64 v[28:29], v[20:21], s[24:25], v[108:109]
	v_fma_f64 v[30:31], v[22:23], s[24:25], v[110:111]
	v_fma_f64 v[20:21], v[20:21], s[26:27], -v[112:113]
	v_fma_f64 v[22:23], v[22:23], s[26:27], -v[114:115]
	v_fma_f64 v[12:13], v[4:5], s[14:15], v[12:13]
	v_fma_f64 v[14:15], v[6:7], s[14:15], v[14:15]
	v_add_f64 v[116:117], v[8:9], v[16:17]
	v_add_f64 v[118:119], v[10:11], v[18:19]
	;; [unrolled: 1-line block ×6, first 2 shown]
	v_fma_f64 v[20:21], v[4:5], s[14:15], v[20:21]
	v_fma_f64 v[22:23], v[6:7], s[14:15], v[22:23]
	;; [unrolled: 1-line block ×4, first 2 shown]
	v_add_f64 v[28:29], v[120:121], v[168:169]
	v_add_f64 v[30:31], v[122:123], v[170:171]
	v_add_f64 v[8:9], v[104:105], -v[14:15]
	v_add_f64 v[10:11], v[12:13], v[106:107]
	v_add_f64 v[104:105], v[14:15], v[104:105]
	v_add_f64 v[106:107], v[106:107], -v[12:13]
	v_add_f64 v[6:7], v[18:19], -v[20:21]
	v_add_f64 v[4:5], v[22:23], v[16:17]
	v_add_f64 v[108:109], v[16:17], -v[22:23]
	v_add_f64 v[110:111], v[20:21], v[18:19]
	v_add_f64 v[12:13], v[176:177], v[58:59]
	;; [unrolled: 1-line block ×6, first 2 shown]
	v_add_f64 v[114:115], v[118:119], -v[24:25]
	v_add_f64 v[116:117], v[116:117], -v[26:27]
	v_add_f64 v[118:119], v[24:25], v[118:119]
	v_add_f64 v[16:17], v[176:177], -v[58:59]
	v_add_f64 v[18:19], v[178:179], -v[182:183]
	;; [unrolled: 1-line block ×6, first 2 shown]
	ds_write_b128 v212, v[76:79]
	ds_write_b128 v212, v[100:103] offset:896
	ds_write_b128 v212, v[96:99] offset:1792
	ds_write_b128 v212, v[92:95] offset:2688
	ds_write_b128 v212, v[88:91] offset:3584
	ds_write_b128 v212, v[84:87] offset:4480
	ds_write_b128 v212, v[80:83] offset:5376
	ds_write_b128 v212, v[0:3] offset:6272
	ds_write_b128 v212, v[112:115] offset:7168
	ds_write_b128 v212, v[4:7] offset:8064
	ds_write_b128 v212, v[8:11] offset:8960
	ds_write_b128 v212, v[104:107] offset:9856
	ds_write_b128 v212, v[108:111] offset:10752
	ds_write_b128 v212, v[116:119] offset:11648
	v_add_f64 v[136:137], v[12:13], -v[28:29]
	v_add_f64 v[138:139], v[14:15], -v[30:31]
	v_add_f64 v[120:121], v[20:21], v[12:13]
	v_add_f64 v[122:123], v[22:23], v[14:15]
	v_add_f64 v[132:133], v[20:21], -v[12:13]
	v_add_f64 v[134:135], v[22:23], -v[14:15]
	v_add_f64 v[20:21], v[28:29], -v[20:21]
	v_add_f64 v[22:23], v[30:31], -v[22:23]
	v_add_f64 v[12:13], v[56:57], v[24:25]
	v_add_f64 v[14:15], v[58:59], v[26:27]
	v_add_f64 v[140:141], v[56:57], -v[24:25]
	v_add_f64 v[142:143], v[58:59], -v[26:27]
	;; [unrolled: 1-line block ×6, first 2 shown]
	v_add_f64 v[28:29], v[28:29], v[120:121]
	v_add_f64 v[30:31], v[30:31], v[122:123]
	v_mul_f64 v[120:121], v[20:21], s[18:19]
	v_mul_f64 v[122:123], v[22:23], s[18:19]
	v_add_f64 v[16:17], v[12:13], v[16:17]
	v_add_f64 v[18:19], v[14:15], v[18:19]
	;; [unrolled: 1-line block ×4, first 2 shown]
	v_mul_f64 v[72:73], v[136:137], s[34:35]
	v_mul_f64 v[74:75], v[138:139], s[34:35]
	;; [unrolled: 1-line block ×6, first 2 shown]
	v_fma_f64 v[120:121], v[132:133], s[20:21], -v[120:121]
	v_fma_f64 v[122:123], v[134:135], s[20:21], -v[122:123]
	v_fma_f64 v[28:29], v[28:29], s[28:29], v[12:13]
	v_fma_f64 v[30:31], v[30:31], s[28:29], v[14:15]
	;; [unrolled: 1-line block ×4, first 2 shown]
	v_fma_f64 v[72:73], v[132:133], s[22:23], -v[72:73]
	v_fma_f64 v[74:75], v[134:135], s[22:23], -v[74:75]
	v_fma_f64 v[132:133], v[56:57], s[24:25], v[136:137]
	v_fma_f64 v[134:135], v[58:59], s[24:25], v[138:139]
	v_fma_f64 v[56:57], v[56:57], s[26:27], -v[140:141]
	v_fma_f64 v[58:59], v[58:59], s[26:27], -v[142:143]
	;; [unrolled: 1-line block ×4, first 2 shown]
	v_add_f64 v[120:121], v[120:121], v[28:29]
	v_add_f64 v[122:123], v[122:123], v[30:31]
	;; [unrolled: 1-line block ×6, first 2 shown]
	v_fma_f64 v[132:133], v[16:17], s[14:15], v[132:133]
	v_fma_f64 v[134:135], v[18:19], s[14:15], v[134:135]
	;; [unrolled: 1-line block ×6, first 2 shown]
	v_add_f64 v[74:75], v[138:139], -v[132:133]
	v_add_f64 v[72:73], v[134:135], v[136:137]
	v_add_f64 v[18:19], v[30:31], -v[56:57]
	v_add_f64 v[16:17], v[58:59], v[28:29]
	;; [unrolled: 2-line block ×3, first 2 shown]
	v_add_f64 v[56:57], v[52:53], v[34:35]
	v_add_f64 v[58:59], v[50:51], v[54:55]
	v_add_f64 v[34:35], v[52:53], -v[34:35]
	v_add_f64 v[50:51], v[50:51], -v[54:55]
	v_add_f64 v[52:53], v[48:49], v[38:39]
	v_add_f64 v[54:55], v[46:47], v[32:33]
	v_add_f64 v[20:21], v[120:121], -v[24:25]
	v_add_f64 v[22:23], v[140:141], v[122:123]
	v_add_f64 v[24:25], v[24:25], v[120:121]
	v_add_f64 v[26:27], v[122:123], -v[140:141]
	v_add_f64 v[120:121], v[136:137], -v[134:135]
	v_add_f64 v[122:123], v[132:133], v[138:139]
	v_add_f64 v[48:49], v[48:49], -v[38:39]
	v_add_f64 v[32:33], v[46:47], -v[32:33]
	v_add_f64 v[132:133], v[44:45], v[42:43]
	v_add_f64 v[134:135], v[40:41], v[36:37]
	v_add_f64 v[38:39], v[42:43], -v[44:45]
	v_add_f64 v[40:41], v[36:37], -v[40:41]
	ds_write_b128 v214, v[12:15] offset:12544
	ds_write_b128 v214, v[72:75] offset:13440
	;; [unrolled: 1-line block ×7, first 2 shown]
	v_add_f64 v[136:137], v[52:53], v[56:57]
	v_add_f64 v[138:139], v[54:55], v[58:59]
	v_add_f64 v[44:45], v[52:53], -v[56:57]
	v_add_f64 v[46:47], v[54:55], -v[58:59]
	;; [unrolled: 1-line block ×7, first 2 shown]
	v_add_f64 v[170:171], v[38:39], v[48:49]
	v_add_f64 v[172:173], v[40:41], v[32:33]
	v_add_f64 v[56:57], v[38:39], -v[48:49]
	v_add_f64 v[58:59], v[40:41], -v[32:33]
	;; [unrolled: 1-line block ×5, first 2 shown]
	v_add_f64 v[168:169], v[132:133], v[136:137]
	v_add_f64 v[174:175], v[134:135], v[138:139]
	v_mul_f64 v[134:135], v[42:43], s[16:17]
	v_add_f64 v[48:49], v[170:171], v[34:35]
	v_add_f64 v[50:51], v[172:173], v[50:51]
	v_mul_f64 v[172:173], v[52:53], s[18:19]
	v_mul_f64 v[170:171], v[54:55], s[18:19]
	;; [unrolled: 1-line block ×5, first 2 shown]
	v_add_f64 v[32:33], v[68:69], v[168:169]
	v_add_f64 v[34:35], v[70:71], v[174:175]
	v_mul_f64 v[68:69], v[140:141], s[34:35]
	v_mul_f64 v[70:71], v[142:143], s[34:35]
	v_fma_f64 v[140:141], v[44:45], s[20:21], -v[172:173]
	v_fma_f64 v[142:143], v[46:47], s[20:21], -v[170:171]
	;; [unrolled: 1-line block ×4, first 2 shown]
	v_fma_f64 v[136:137], v[168:169], s[28:29], v[32:33]
	v_fma_f64 v[138:139], v[174:175], s[28:29], v[34:35]
	;; [unrolled: 1-line block ×4, first 2 shown]
	v_fma_f64 v[44:45], v[44:45], s[22:23], -v[68:69]
	v_fma_f64 v[46:47], v[46:47], s[22:23], -v[70:71]
	v_fma_f64 v[68:69], v[36:37], s[24:25], v[56:57]
	v_fma_f64 v[70:71], v[38:39], s[24:25], v[58:59]
	v_fma_f64 v[36:37], v[36:37], s[26:27], -v[132:133]
	v_fma_f64 v[38:39], v[38:39], s[26:27], -v[134:135]
	v_add_f64 v[56:57], v[52:53], v[136:137]
	v_add_f64 v[58:59], v[54:55], v[138:139]
	;; [unrolled: 1-line block ×6, first 2 shown]
	v_fma_f64 v[68:69], v[48:49], s[14:15], v[68:69]
	v_fma_f64 v[70:71], v[50:51], s[14:15], v[70:71]
	;; [unrolled: 1-line block ×6, first 2 shown]
	v_add_f64 v[42:43], v[58:59], -v[68:69]
	v_add_f64 v[40:41], v[70:71], v[56:57]
	v_add_f64 v[46:47], v[136:137], v[54:55]
	v_add_f64 v[44:45], v[52:53], -v[138:139]
	v_add_f64 v[48:49], v[138:139], v[52:53]
	v_add_f64 v[50:51], v[54:55], -v[136:137]
	v_add_f64 v[56:57], v[56:57], -v[70:71]
	v_add_f64 v[58:59], v[68:69], v[58:59]
	v_add_f64 v[68:69], v[156:157], v[164:165]
	;; [unrolled: 1-line block ×6, first 2 shown]
	v_add_f64 v[38:39], v[134:135], -v[140:141]
	v_add_f64 v[52:53], v[132:133], -v[142:143]
	v_add_f64 v[54:55], v[140:141], v[134:135]
	v_add_f64 v[128:129], v[128:129], -v[160:161]
	v_add_f64 v[130:131], v[130:131], -v[162:163]
	v_add_f64 v[140:141], v[60:61], v[124:125]
	v_add_f64 v[142:143], v[62:63], v[126:127]
	v_add_f64 v[60:61], v[124:125], -v[60:61]
	v_add_f64 v[62:63], v[126:127], -v[62:63]
	;; [unrolled: 1-line block ×4, first 2 shown]
	ds_write_b128 v199, v[32:35] offset:18816
	ds_write_b128 v199, v[40:43] offset:19712
	;; [unrolled: 1-line block ×7, first 2 shown]
	v_add_f64 v[124:125], v[136:137], v[68:69]
	v_add_f64 v[126:127], v[138:139], v[70:71]
	v_add_f64 v[156:157], v[136:137], -v[68:69]
	v_add_f64 v[158:159], v[138:139], -v[70:71]
	;; [unrolled: 1-line block ×8, first 2 shown]
	v_add_f64 v[160:161], v[60:61], v[128:129]
	v_add_f64 v[162:163], v[62:63], v[130:131]
	v_add_f64 v[128:129], v[128:129], -v[132:133]
	v_add_f64 v[130:131], v[130:131], -v[134:135]
	v_add_f64 v[168:169], v[132:133], -v[60:61]
	v_add_f64 v[170:171], v[134:135], -v[62:63]
	v_add_f64 v[124:125], v[140:141], v[124:125]
	v_add_f64 v[126:127], v[142:143], v[126:127]
	v_mul_f64 v[140:141], v[164:165], s[30:31]
	v_mul_f64 v[142:143], v[166:167], s[30:31]
	v_add_f64 v[132:133], v[160:161], v[132:133]
	v_add_f64 v[134:135], v[162:163], v[134:135]
	v_mul_f64 v[160:161], v[128:129], s[16:17]
	v_mul_f64 v[162:163], v[130:131], s[16:17]
	;; [unrolled: 4-line block ×3, first 2 shown]
	v_mul_f64 v[68:69], v[136:137], s[18:19]
	v_mul_f64 v[70:71], v[138:139], s[18:19]
	v_fma_f64 v[128:129], v[128:129], s[16:17], -v[140:141]
	v_fma_f64 v[130:131], v[130:131], s[16:17], -v[142:143]
	s_mov_b32 s17, 0xbfee6f0e
	v_fma_f64 v[124:125], v[124:125], s[28:29], v[60:61]
	v_fma_f64 v[126:127], v[126:127], s[28:29], v[62:63]
	v_fma_f64 v[136:137], v[136:137], s[18:19], v[64:65]
	v_fma_f64 v[138:139], v[138:139], s[18:19], v[66:67]
	v_fma_f64 v[68:69], v[156:157], s[20:21], -v[68:69]
	v_fma_f64 v[70:71], v[158:159], s[20:21], -v[70:71]
	v_fma_f64 v[64:65], v[156:157], s[22:23], -v[64:65]
	v_fma_f64 v[66:67], v[158:159], s[22:23], -v[66:67]
	v_fma_f64 v[156:157], v[168:169], s[24:25], v[140:141]
	v_fma_f64 v[158:159], v[170:171], s[24:25], v[142:143]
	v_fma_f64 v[140:141], v[168:169], s[26:27], -v[160:161]
	v_fma_f64 v[142:143], v[170:171], s[26:27], -v[162:163]
	s_mov_b32 s18, 0x134454ff
	s_mov_b32 s19, 0x3fee6f0e
	;; [unrolled: 1-line block ×4, first 2 shown]
	v_add_f64 v[136:137], v[136:137], v[124:125]
	v_add_f64 v[138:139], v[138:139], v[126:127]
	;; [unrolled: 1-line block ×6, first 2 shown]
	v_fma_f64 v[168:169], v[132:133], s[14:15], v[156:157]
	v_fma_f64 v[170:171], v[134:135], s[14:15], v[158:159]
	;; [unrolled: 1-line block ×6, first 2 shown]
	s_mov_b32 s14, 0x372fe950
	s_mov_b32 s15, 0x3fd3c6ef
	v_add_f64 v[66:67], v[138:139], -v[168:169]
	v_add_f64 v[64:65], v[170:171], v[136:137]
	v_add_f64 v[126:127], v[156:157], v[162:163]
	v_add_f64 v[124:125], v[160:161], -v[128:129]
	v_add_f64 v[70:71], v[166:167], -v[132:133]
	v_add_f64 v[68:69], v[134:135], v[164:165]
	v_add_f64 v[128:129], v[128:129], v[160:161]
	v_add_f64 v[130:131], v[162:163], -v[156:157]
	v_add_f64 v[156:157], v[164:165], -v[134:135]
	v_add_f64 v[158:159], v[132:133], v[166:167]
	v_add_f64 v[160:161], v[136:137], -v[170:171]
	v_add_f64 v[162:163], v[168:169], v[138:139]
	ds_write_b128 v198, v[60:63] offset:25088
	ds_write_b128 v198, v[64:67] offset:25984
	;; [unrolled: 1-line block ×7, first 2 shown]
	s_waitcnt lgkmcnt(0)
	s_barrier
	buffer_gl0_inv
	ds_read_b128 v[4:7], v212
	ds_read_b128 v[96:99], v212 offset:6272
	ds_read_b128 v[100:103], v212 offset:12544
	;; [unrolled: 1-line block ×34, first 2 shown]
	buffer_load_dword v112, off, s[36:39], 0 offset:1400 ; 4-byte Folded Reload
	s_waitcnt vmcnt(0)
	v_lshlrev_b32_e32 v112, 4, v112
	v_add_co_u32 v114, s1, s4, v112
	v_add_co_ci_u32_e64 v115, null, s5, 0, s1
	v_add_co_u32 v112, s1, 0x1840, v114
	v_add_co_ci_u32_e64 v113, s1, 0, v115, s1
	v_add_co_u32 v114, s1, 0x1800, v114
	v_add_co_ci_u32_e64 v115, s1, 0, v115, s1
	s_clause 0x3
	global_load_dwordx4 v[132:135], v[114:115], off offset:64
	global_load_dwordx4 v[114:117], v[112:113], off offset:48
	global_load_dwordx4 v[118:121], v[112:113], off offset:32
	global_load_dwordx4 v[122:125], v[112:113], off offset:16
	s_waitcnt vmcnt(3) lgkmcnt(33)
	v_mul_f64 v[112:113], v[98:99], v[134:135]
	v_fma_f64 v[254:255], v[96:97], v[132:133], -v[112:113]
	v_mul_f64 v[96:97], v[96:97], v[134:135]
	buffer_store_dword v132, off, s[36:39], 0 offset:1448 ; 4-byte Folded Spill
	buffer_store_dword v133, off, s[36:39], 0 offset:1452 ; 4-byte Folded Spill
	buffer_store_dword v134, off, s[36:39], 0 offset:1456 ; 4-byte Folded Spill
	buffer_store_dword v135, off, s[36:39], 0 offset:1460 ; 4-byte Folded Spill
	v_fma_f64 v[180:181], v[98:99], v[132:133], v[96:97]
	s_waitcnt vmcnt(0) lgkmcnt(32)
	v_mul_f64 v[96:97], v[102:103], v[124:125]
	v_fma_f64 v[192:193], v[100:101], v[122:123], -v[96:97]
	v_mul_f64 v[96:97], v[100:101], v[124:125]
	buffer_store_dword v122, off, s[36:39], 0 offset:1432 ; 4-byte Folded Spill
	buffer_store_dword v123, off, s[36:39], 0 offset:1436 ; 4-byte Folded Spill
	buffer_store_dword v124, off, s[36:39], 0 offset:1440 ; 4-byte Folded Spill
	buffer_store_dword v125, off, s[36:39], 0 offset:1444 ; 4-byte Folded Spill
	v_fma_f64 v[182:183], v[102:103], v[122:123], v[96:97]
	s_waitcnt lgkmcnt(31)
	v_mul_f64 v[96:97], v[106:107], v[120:121]
	v_fma_f64 v[194:195], v[104:105], v[118:119], -v[96:97]
	v_mul_f64 v[96:97], v[104:105], v[120:121]
	buffer_store_dword v118, off, s[36:39], 0 offset:1416 ; 4-byte Folded Spill
	buffer_store_dword v119, off, s[36:39], 0 offset:1420 ; 4-byte Folded Spill
	buffer_store_dword v120, off, s[36:39], 0 offset:1424 ; 4-byte Folded Spill
	buffer_store_dword v121, off, s[36:39], 0 offset:1428 ; 4-byte Folded Spill
	v_fma_f64 v[176:177], v[106:107], v[118:119], v[96:97]
	s_waitcnt lgkmcnt(30)
	v_mul_f64 v[96:97], v[110:111], v[116:117]
	v_fma_f64 v[196:197], v[108:109], v[114:115], -v[96:97]
	v_mul_f64 v[96:97], v[108:109], v[116:117]
	buffer_store_dword v114, off, s[36:39], 0 offset:1400 ; 4-byte Folded Spill
	buffer_store_dword v115, off, s[36:39], 0 offset:1404 ; 4-byte Folded Spill
	buffer_store_dword v116, off, s[36:39], 0 offset:1408 ; 4-byte Folded Spill
	buffer_store_dword v117, off, s[36:39], 0 offset:1412 ; 4-byte Folded Spill
	v_fma_f64 v[178:179], v[110:111], v[114:115], v[96:97]
	buffer_load_dword v96, off, s[36:39], 0 offset:1464 ; 4-byte Folded Reload
	s_waitcnt vmcnt(0)
	v_lshlrev_b32_e32 v96, 4, v96
	v_add_co_u32 v98, s1, s4, v96
	v_add_co_ci_u32_e64 v99, null, s5, 0, s1
	v_add_co_u32 v96, s1, 0x1840, v98
	v_add_co_ci_u32_e64 v97, s1, 0, v99, s1
	v_add_co_u32 v98, s1, 0x1800, v98
	v_add_co_ci_u32_e64 v99, s1, 0, v99, s1
	s_clause 0x3
	global_load_dwordx4 v[110:113], v[98:99], off offset:64
	global_load_dwordx4 v[98:101], v[96:97], off offset:48
	global_load_dwordx4 v[102:105], v[96:97], off offset:32
	global_load_dwordx4 v[106:109], v[96:97], off offset:16
	s_waitcnt vmcnt(3) lgkmcnt(28)
	v_mul_f64 v[96:97], v[94:95], v[112:113]
	v_fma_f64 v[184:185], v[92:93], v[110:111], -v[96:97]
	v_mul_f64 v[92:93], v[92:93], v[112:113]
	buffer_store_dword v110, off, s[36:39], 0 offset:1512 ; 4-byte Folded Spill
	buffer_store_dword v111, off, s[36:39], 0 offset:1516 ; 4-byte Folded Spill
	buffer_store_dword v112, off, s[36:39], 0 offset:1520 ; 4-byte Folded Spill
	buffer_store_dword v113, off, s[36:39], 0 offset:1524 ; 4-byte Folded Spill
	v_fma_f64 v[124:125], v[94:95], v[110:111], v[92:93]
	s_waitcnt vmcnt(0) lgkmcnt(27)
	v_mul_f64 v[92:93], v[90:91], v[108:109]
	v_fma_f64 v[186:187], v[88:89], v[106:107], -v[92:93]
	v_mul_f64 v[88:89], v[88:89], v[108:109]
	buffer_store_dword v106, off, s[36:39], 0 offset:1496 ; 4-byte Folded Spill
	buffer_store_dword v107, off, s[36:39], 0 offset:1500 ; 4-byte Folded Spill
	buffer_store_dword v108, off, s[36:39], 0 offset:1504 ; 4-byte Folded Spill
	buffer_store_dword v109, off, s[36:39], 0 offset:1508 ; 4-byte Folded Spill
	v_fma_f64 v[126:127], v[90:91], v[106:107], v[88:89]
	s_waitcnt lgkmcnt(26)
	v_mul_f64 v[88:89], v[86:87], v[104:105]
	v_fma_f64 v[188:189], v[84:85], v[102:103], -v[88:89]
	v_mul_f64 v[84:85], v[84:85], v[104:105]
	buffer_store_dword v102, off, s[36:39], 0 offset:1480 ; 4-byte Folded Spill
	buffer_store_dword v103, off, s[36:39], 0 offset:1484 ; 4-byte Folded Spill
	buffer_store_dword v104, off, s[36:39], 0 offset:1488 ; 4-byte Folded Spill
	buffer_store_dword v105, off, s[36:39], 0 offset:1492 ; 4-byte Folded Spill
	v_fma_f64 v[160:161], v[86:87], v[102:103], v[84:85]
	s_waitcnt lgkmcnt(25)
	v_mul_f64 v[84:85], v[82:83], v[100:101]
	v_fma_f64 v[190:191], v[80:81], v[98:99], -v[84:85]
	v_mul_f64 v[80:81], v[80:81], v[100:101]
	buffer_store_dword v98, off, s[36:39], 0 offset:1464 ; 4-byte Folded Spill
	buffer_store_dword v99, off, s[36:39], 0 offset:1468 ; 4-byte Folded Spill
	buffer_store_dword v100, off, s[36:39], 0 offset:1472 ; 4-byte Folded Spill
	buffer_store_dword v101, off, s[36:39], 0 offset:1476 ; 4-byte Folded Spill
	v_fma_f64 v[164:165], v[82:83], v[98:99], v[80:81]
	;; [unrolled: 50-line block ×3, first 2 shown]
	buffer_load_dword v64, off, s[36:39], 0 offset:1592 ; 4-byte Folded Reload
	s_waitcnt vmcnt(0)
	v_lshlrev_b32_e32 v64, 4, v64
	v_add_co_u32 v66, s1, s4, v64
	v_add_co_ci_u32_e64 v67, null, s5, 0, s1
	v_add_co_u32 v64, s1, 0x1840, v66
	v_add_co_ci_u32_e64 v65, s1, 0, v67, s1
	v_add_co_u32 v66, s1, 0x1800, v66
	v_add_co_ci_u32_e64 v67, s1, 0, v67, s1
	s_clause 0x3
	global_load_dwordx4 v[90:93], v[66:67], off offset:64
	global_load_dwordx4 v[78:81], v[64:65], off offset:48
	;; [unrolled: 1-line block ×4, first 2 shown]
	s_waitcnt vmcnt(3) lgkmcnt(18)
	v_mul_f64 v[64:65], v[158:159], v[92:93]
	s_waitcnt vmcnt(0) lgkmcnt(17)
	v_mul_f64 v[66:67], v[130:131], v[96:97]
	v_fma_f64 v[202:203], v[156:157], v[90:91], -v[64:65]
	v_mul_f64 v[64:65], v[156:157], v[92:93]
	buffer_store_dword v90, off, s[36:39], 0 offset:1624 ; 4-byte Folded Spill
	buffer_store_dword v91, off, s[36:39], 0 offset:1628 ; 4-byte Folded Spill
	;; [unrolled: 1-line block ×4, first 2 shown]
	v_fma_f64 v[162:163], v[128:129], v[94:95], -v[66:67]
	v_mul_f64 v[66:67], v[128:129], v[96:97]
	buffer_store_dword v94, off, s[36:39], 0 offset:1640 ; 4-byte Folded Spill
	buffer_store_dword v95, off, s[36:39], 0 offset:1644 ; 4-byte Folded Spill
	;; [unrolled: 1-line block ×4, first 2 shown]
	v_fma_f64 v[64:65], v[158:159], v[90:91], v[64:65]
	v_fma_f64 v[92:93], v[130:131], v[94:95], v[66:67]
	s_waitcnt lgkmcnt(16)
	v_mul_f64 v[66:67], v[62:63], v[84:85]
	v_fma_f64 v[174:175], v[60:61], v[82:83], -v[66:67]
	v_mul_f64 v[60:61], v[60:61], v[84:85]
	buffer_store_dword v82, off, s[36:39], 0 offset:1608 ; 4-byte Folded Spill
	buffer_store_dword v83, off, s[36:39], 0 offset:1612 ; 4-byte Folded Spill
	;; [unrolled: 1-line block ×4, first 2 shown]
	v_fma_f64 v[62:63], v[62:63], v[82:83], v[60:61]
	s_waitcnt lgkmcnt(15)
	v_mul_f64 v[60:61], v[58:59], v[80:81]
	v_fma_f64 v[128:129], v[56:57], v[78:79], -v[60:61]
	v_mul_f64 v[56:57], v[56:57], v[80:81]
	buffer_store_dword v78, off, s[36:39], 0 offset:1592 ; 4-byte Folded Spill
	buffer_store_dword v79, off, s[36:39], 0 offset:1596 ; 4-byte Folded Spill
	;; [unrolled: 1-line block ×4, first 2 shown]
	buffer_load_dword v132, off, s[36:39], 0 offset:740 ; 4-byte Folded Reload
	v_fma_f64 v[200:201], v[58:59], v[78:79], v[56:57]
	s_waitcnt vmcnt(0)
	v_add_co_u32 v58, s1, s4, v132
	v_add_co_ci_u32_e64 v59, null, s5, 0, s1
	v_add_co_u32 v56, s1, 0x1840, v58
	v_add_co_ci_u32_e64 v57, s1, 0, v59, s1
	v_add_co_u32 v58, s1, 0x1800, v58
	v_add_co_ci_u32_e64 v59, s1, 0, v59, s1
	s_clause 0x3
	global_load_dwordx4 v[94:97], v[58:59], off offset:64
	global_load_dwordx4 v[58:61], v[56:57], off offset:48
	;; [unrolled: 1-line block ×4, first 2 shown]
	s_waitcnt vmcnt(3) lgkmcnt(13)
	v_mul_f64 v[56:57], v[54:55], v[96:97]
	v_fma_f64 v[66:67], v[52:53], v[94:95], -v[56:57]
	v_mul_f64 v[52:53], v[52:53], v[96:97]
	buffer_store_dword v94, off, s[36:39], 0 offset:1704 ; 4-byte Folded Spill
	buffer_store_dword v95, off, s[36:39], 0 offset:1708 ; 4-byte Folded Spill
	;; [unrolled: 1-line block ×4, first 2 shown]
	v_fma_f64 v[74:75], v[54:55], v[94:95], v[52:53]
	s_waitcnt vmcnt(0) lgkmcnt(12)
	v_mul_f64 v[52:53], v[50:51], v[86:87]
	v_fma_f64 v[70:71], v[48:49], v[84:85], -v[52:53]
	v_mul_f64 v[48:49], v[48:49], v[86:87]
	buffer_store_dword v84, off, s[36:39], 0 offset:1688 ; 4-byte Folded Spill
	buffer_store_dword v85, off, s[36:39], 0 offset:1692 ; 4-byte Folded Spill
	;; [unrolled: 1-line block ×4, first 2 shown]
	v_fma_f64 v[78:79], v[50:51], v[84:85], v[48:49]
	s_waitcnt lgkmcnt(11)
	v_mul_f64 v[48:49], v[46:47], v[82:83]
	v_fma_f64 v[84:85], v[44:45], v[80:81], -v[48:49]
	v_mul_f64 v[44:45], v[44:45], v[82:83]
	buffer_store_dword v80, off, s[36:39], 0 offset:1672 ; 4-byte Folded Spill
	buffer_store_dword v81, off, s[36:39], 0 offset:1676 ; 4-byte Folded Spill
	;; [unrolled: 1-line block ×4, first 2 shown]
	v_fma_f64 v[80:81], v[46:47], v[80:81], v[44:45]
	s_waitcnt lgkmcnt(10)
	v_mul_f64 v[44:45], v[42:43], v[60:61]
	v_fma_f64 v[96:97], v[40:41], v[58:59], -v[44:45]
	v_mul_f64 v[40:41], v[40:41], v[60:61]
	buffer_store_dword v58, off, s[36:39], 0 offset:1656 ; 4-byte Folded Spill
	buffer_store_dword v59, off, s[36:39], 0 offset:1660 ; 4-byte Folded Spill
	buffer_store_dword v60, off, s[36:39], 0 offset:1664 ; 4-byte Folded Spill
	buffer_store_dword v61, off, s[36:39], 0 offset:1668 ; 4-byte Folded Spill
	v_add_f64 v[60:61], v[128:129], -v[174:175]
	v_fma_f64 v[82:83], v[42:43], v[58:59], v[40:41]
	buffer_load_dword v40, off, s[36:39], 0 offset:1720 ; 4-byte Folded Reload
	v_add_f64 v[58:59], v[92:93], -v[62:63]
	s_waitcnt vmcnt(0)
	v_lshlrev_b32_e32 v40, 4, v40
	v_add_co_u32 v42, s1, s4, v40
	v_add_co_ci_u32_e64 v43, null, s5, 0, s1
	v_add_co_u32 v40, s1, 0x1840, v42
	v_add_co_ci_u32_e64 v41, s1, 0, v43, s1
	v_add_co_u32 v42, s1, 0x1800, v42
	v_add_co_ci_u32_e64 v43, s1, 0, v43, s1
	s_clause 0x3
	global_load_dwordx4 v[50:53], v[42:43], off offset:64
	global_load_dwordx4 v[42:45], v[40:41], off offset:48
	;; [unrolled: 1-line block ×4, first 2 shown]
	s_waitcnt vmcnt(3) lgkmcnt(8)
	v_mul_f64 v[40:41], v[38:39], v[52:53]
	v_fma_f64 v[86:87], v[36:37], v[50:51], -v[40:41]
	v_mul_f64 v[36:37], v[36:37], v[52:53]
	buffer_store_dword v50, off, s[36:39], 0 offset:1752 ; 4-byte Folded Spill
	buffer_store_dword v51, off, s[36:39], 0 offset:1756 ; 4-byte Folded Spill
	;; [unrolled: 1-line block ×4, first 2 shown]
	v_add_f64 v[40:41], v[166:167], -v[168:169]
	v_add_f64 v[52:53], v[88:89], -v[68:69]
	v_fma_f64 v[94:95], v[38:39], v[50:51], v[36:37]
	s_waitcnt vmcnt(0) lgkmcnt(7)
	v_mul_f64 v[36:37], v[34:35], v[56:57]
	v_add_f64 v[38:39], v[160:161], -v[164:165]
	v_add_f64 v[50:51], v[168:169], -v[170:171]
	v_fma_f64 v[90:91], v[32:33], v[54:55], -v[36:37]
	v_mul_f64 v[32:33], v[32:33], v[56:57]
	buffer_store_dword v54, off, s[36:39], 0 offset:1768 ; 4-byte Folded Spill
	buffer_store_dword v55, off, s[36:39], 0 offset:1772 ; 4-byte Folded Spill
	;; [unrolled: 1-line block ×4, first 2 shown]
	v_add_f64 v[56:57], v[68:69], -v[88:89]
	v_fma_f64 v[98:99], v[34:35], v[54:55], v[32:33]
	s_waitcnt lgkmcnt(6)
	v_mul_f64 v[32:33], v[30:31], v[48:49]
	v_add_f64 v[54:55], v[72:73], -v[76:77]
	v_fma_f64 v[120:121], v[28:29], v[46:47], -v[32:33]
	v_mul_f64 v[28:29], v[28:29], v[48:49]
	buffer_store_dword v46, off, s[36:39], 0 offset:1736 ; 4-byte Folded Spill
	buffer_store_dword v47, off, s[36:39], 0 offset:1740 ; 4-byte Folded Spill
	;; [unrolled: 1-line block ×4, first 2 shown]
	v_add_f64 v[48:49], v[170:171], -v[172:173]
	v_add_f64 v[54:55], v[54:55], v[56:57]
	v_add_f64 v[56:57], v[202:203], -v[162:163]
	v_add_f64 v[60:61], v[56:57], v[60:61]
	v_fma_f64 v[116:117], v[30:31], v[46:47], v[28:29]
	s_waitcnt lgkmcnt(5)
	v_mul_f64 v[28:29], v[26:27], v[44:45]
	v_add_f64 v[46:47], v[168:169], -v[166:167]
	v_fma_f64 v[122:123], v[24:25], v[42:43], -v[28:29]
	v_mul_f64 v[24:25], v[24:25], v[44:45]
	buffer_store_dword v42, off, s[36:39], 0 offset:1720 ; 4-byte Folded Spill
	buffer_store_dword v43, off, s[36:39], 0 offset:1724 ; 4-byte Folded Spill
	;; [unrolled: 1-line block ×4, first 2 shown]
	buffer_load_dword v133, off, s[36:39], 0 offset:752 ; 4-byte Folded Reload
	v_add_f64 v[44:45], v[172:173], -v[170:171]
	v_add_f64 v[46:47], v[46:47], v[48:49]
	v_add_f64 v[48:49], v[166:167], -v[172:173]
	v_add_f64 v[44:45], v[40:41], v[44:45]
	v_fma_f64 v[118:119], v[26:27], v[42:43], v[24:25]
	v_add_f64 v[42:43], v[72:73], -v[68:69]
	s_waitcnt vmcnt(0)
	v_add_co_u32 v26, s1, s4, v133
	v_add_co_ci_u32_e64 v27, null, s5, 0, s1
	s_mov_b32 s4, 0x4755a5e
	v_add_co_u32 v24, s1, 0x1840, v26
	v_add_co_ci_u32_e64 v25, s1, 0, v27, s1
	v_add_co_u32 v26, s1, 0x1800, v26
	v_add_co_ci_u32_e64 v27, s1, 0, v27, s1
	s_clause 0x3
	global_load_dwordx4 v[156:159], v[26:27], off offset:64
	global_load_dwordx4 v[26:29], v[24:25], off offset:48
	global_load_dwordx4 v[30:33], v[24:25], off offset:32
	global_load_dwordx4 v[34:37], v[24:25], off offset:16
	s_mov_b32 s5, 0x3fe2cf23
	s_mov_b32 s20, s4
	s_waitcnt vmcnt(3) lgkmcnt(3)
	v_mul_f64 v[24:25], v[22:23], v[158:159]
	v_fma_f64 v[108:109], v[20:21], v[156:157], -v[24:25]
	v_mul_f64 v[20:21], v[20:21], v[158:159]
	v_add_f64 v[24:25], v[184:185], -v[186:187]
	v_fma_f64 v[100:101], v[22:23], v[156:157], v[20:21]
	s_waitcnt vmcnt(0) lgkmcnt(2)
	v_mul_f64 v[20:21], v[18:19], v[36:37]
	v_add_f64 v[22:23], v[178:179], -v[176:177]
	v_fma_f64 v[110:111], v[16:17], v[34:35], -v[20:21]
	v_mul_f64 v[16:17], v[16:17], v[36:37]
	buffer_store_dword v34, off, s[36:39], 0 offset:1816 ; 4-byte Folded Spill
	buffer_store_dword v35, off, s[36:39], 0 offset:1820 ; 4-byte Folded Spill
	;; [unrolled: 1-line block ×4, first 2 shown]
	v_add_f64 v[20:21], v[180:181], -v[182:183]
	v_add_f64 v[36:37], v[164:165], -v[160:161]
	v_add_f64 v[20:21], v[20:21], v[22:23]
	v_add_f64 v[22:23], v[176:177], -v[178:179]
	v_fma_f64 v[102:103], v[18:19], v[34:35], v[16:17]
	s_waitcnt lgkmcnt(1)
	v_mul_f64 v[16:17], v[10:11], v[32:33]
	v_add_f64 v[18:19], v[196:197], -v[194:195]
	v_add_f64 v[34:35], v[186:187], -v[188:189]
	v_fma_f64 v[112:113], v[8:9], v[30:31], -v[16:17]
	v_mul_f64 v[8:9], v[8:9], v[32:33]
	buffer_store_dword v30, off, s[36:39], 0 offset:1800 ; 4-byte Folded Spill
	buffer_store_dword v31, off, s[36:39], 0 offset:1804 ; 4-byte Folded Spill
	;; [unrolled: 1-line block ×4, first 2 shown]
	v_add_f64 v[16:17], v[182:183], -v[176:177]
	v_add_f64 v[32:33], v[184:185], -v[190:191]
	v_fma_f64 v[104:105], v[10:11], v[30:31], v[8:9]
	s_waitcnt lgkmcnt(0)
	v_mul_f64 v[8:9], v[2:3], v[28:29]
	v_add_f64 v[10:11], v[180:181], -v[178:179]
	v_add_f64 v[30:31], v[188:189], -v[190:191]
	v_fma_f64 v[114:115], v[0:1], v[26:27], -v[8:9]
	v_mul_f64 v[0:1], v[0:1], v[28:29]
	buffer_store_dword v26, off, s[36:39], 0 offset:1784 ; 4-byte Folded Spill
	buffer_store_dword v27, off, s[36:39], 0 offset:1788 ; 4-byte Folded Spill
	;; [unrolled: 1-line block ×4, first 2 shown]
	v_add_f64 v[8:9], v[254:255], -v[192:193]
	v_add_f64 v[28:29], v[190:191], -v[188:189]
	;; [unrolled: 1-line block ×3, first 2 shown]
	v_add_f64 v[8:9], v[8:9], v[18:19]
	v_add_f64 v[18:19], v[194:195], -v[196:197]
	v_add_f64 v[28:29], v[24:25], v[28:29]
	v_fma_f64 v[106:107], v[2:3], v[26:27], v[0:1]
	v_add_f64 v[0:1], v[4:5], v[254:255]
	v_add_f64 v[26:27], v[126:127], -v[160:161]
	v_add_f64 v[0:1], v[0:1], v[192:193]
	v_add_f64 v[0:1], v[0:1], v[194:195]
	;; [unrolled: 1-line block ×4, first 2 shown]
	v_fma_f64 v[2:3], v[0:1], -0.5, v[4:5]
	v_fma_f64 v[0:1], v[10:11], s[18:19], v[2:3]
	v_fma_f64 v[2:3], v[10:11], s[16:17], v[2:3]
	;; [unrolled: 1-line block ×6, first 2 shown]
	v_add_f64 v[2:3], v[254:255], v[196:197]
	v_add_f64 v[8:9], v[192:193], -v[254:255]
	v_fma_f64 v[2:3], v[2:3], -0.5, v[4:5]
	v_add_f64 v[18:19], v[8:9], v[18:19]
	v_fma_f64 v[4:5], v[16:17], s[16:17], v[2:3]
	v_fma_f64 v[2:3], v[16:17], s[18:19], v[2:3]
	v_add_f64 v[16:17], v[254:255], -v[196:197]
	buffer_load_dword v196, off, s[36:39], 0 offset:8 ; 4-byte Folded Reload
	v_fma_f64 v[4:5], v[10:11], s[4:5], v[4:5]
	v_fma_f64 v[2:3], v[10:11], s[20:21], v[2:3]
	;; [unrolled: 1-line block ×4, first 2 shown]
	v_add_f64 v[2:3], v[6:7], v[180:181]
	v_add_f64 v[18:19], v[192:193], -v[194:195]
	v_add_f64 v[2:3], v[2:3], v[182:183]
	v_add_f64 v[2:3], v[2:3], v[176:177]
	;; [unrolled: 1-line block ×4, first 2 shown]
	v_fma_f64 v[10:11], v[2:3], -0.5, v[6:7]
	v_fma_f64 v[2:3], v[16:17], s[16:17], v[10:11]
	v_fma_f64 v[10:11], v[16:17], s[18:19], v[10:11]
	;; [unrolled: 1-line block ×6, first 2 shown]
	v_add_f64 v[10:11], v[180:181], v[178:179]
	v_add_f64 v[20:21], v[182:183], -v[180:181]
	v_fma_f64 v[6:7], v[10:11], -0.5, v[6:7]
	v_add_f64 v[20:21], v[20:21], v[22:23]
	v_add_f64 v[22:23], v[124:125], -v[164:165]
	v_fma_f64 v[10:11], v[18:19], s[18:19], v[6:7]
	v_fma_f64 v[6:7], v[18:19], s[16:17], v[6:7]
	v_add_f64 v[18:19], v[186:187], v[188:189]
	v_fma_f64 v[10:11], v[16:17], s[20:21], v[10:11]
	v_fma_f64 v[6:7], v[16:17], s[4:5], v[6:7]
	v_fma_f64 v[18:19], v[18:19], -0.5, v[12:13]
	v_add_f64 v[16:17], v[12:13], v[184:185]
	v_fma_f64 v[10:11], v[20:21], s[14:15], v[10:11]
	v_fma_f64 v[6:7], v[20:21], s[14:15], v[6:7]
	v_fma_f64 v[20:21], v[22:23], s[18:19], v[18:19]
	v_fma_f64 v[18:19], v[22:23], s[16:17], v[18:19]
	v_add_f64 v[16:17], v[16:17], v[186:187]
	v_fma_f64 v[20:21], v[26:27], s[4:5], v[20:21]
	v_fma_f64 v[18:19], v[26:27], s[20:21], v[18:19]
	v_add_f64 v[16:17], v[16:17], v[188:189]
	v_fma_f64 v[24:25], v[28:29], s[14:15], v[20:21]
	v_fma_f64 v[20:21], v[28:29], s[14:15], v[18:19]
	v_add_f64 v[18:19], v[184:185], v[190:191]
	v_add_f64 v[28:29], v[186:187], -v[184:185]
	v_add_f64 v[16:17], v[16:17], v[190:191]
	v_fma_f64 v[12:13], v[18:19], -0.5, v[12:13]
	v_add_f64 v[30:31], v[28:29], v[30:31]
	v_fma_f64 v[18:19], v[26:27], s[16:17], v[12:13]
	v_fma_f64 v[12:13], v[26:27], s[18:19], v[12:13]
	;; [unrolled: 1-line block ×4, first 2 shown]
	v_add_f64 v[22:23], v[126:127], v[160:161]
	v_fma_f64 v[28:29], v[30:31], s[14:15], v[18:19]
	v_fma_f64 v[12:13], v[30:31], s[14:15], v[12:13]
	v_fma_f64 v[22:23], v[22:23], -0.5, v[14:15]
	v_add_f64 v[30:31], v[124:125], -v[126:127]
	v_add_f64 v[18:19], v[14:15], v[124:125]
	v_fma_f64 v[26:27], v[32:33], s[16:17], v[22:23]
	v_fma_f64 v[22:23], v[32:33], s[18:19], v[22:23]
	v_add_f64 v[30:31], v[30:31], v[36:37]
	v_add_f64 v[36:37], v[126:127], -v[124:125]
	v_add_f64 v[18:19], v[18:19], v[126:127]
	v_add_f64 v[126:127], v[84:85], -v[96:97]
	v_fma_f64 v[26:27], v[34:35], s[20:21], v[26:27]
	v_fma_f64 v[22:23], v[34:35], s[4:5], v[22:23]
	v_add_f64 v[36:37], v[36:37], v[38:39]
	v_add_f64 v[38:39], v[76:77], -v[88:89]
	v_add_f64 v[18:19], v[18:19], v[160:161]
	v_fma_f64 v[26:27], v[30:31], s[14:15], v[26:27]
	v_fma_f64 v[22:23], v[30:31], s[14:15], v[22:23]
	v_add_f64 v[30:31], v[124:125], v[164:165]
	v_add_f64 v[124:125], v[70:71], -v[66:67]
	v_add_f64 v[18:19], v[18:19], v[164:165]
	v_fma_f64 v[14:15], v[30:31], -0.5, v[14:15]
	v_add_f64 v[124:125], v[124:125], v[126:127]
	v_add_f64 v[126:127], v[90:91], -v[86:87]
	v_fma_f64 v[30:31], v[34:35], s[18:19], v[14:15]
	v_fma_f64 v[14:15], v[34:35], s[16:17], v[14:15]
	v_add_f64 v[34:35], v[168:169], v[170:171]
	v_fma_f64 v[30:31], v[32:33], s[20:21], v[30:31]
	v_fma_f64 v[14:15], v[32:33], s[4:5], v[14:15]
	v_fma_f64 v[34:35], v[34:35], -0.5, v[240:241]
	v_add_f64 v[32:33], v[240:241], v[166:167]
	v_fma_f64 v[30:31], v[36:37], s[14:15], v[30:31]
	v_fma_f64 v[14:15], v[36:37], s[14:15], v[14:15]
	;; [unrolled: 1-line block ×4, first 2 shown]
	v_add_f64 v[32:33], v[32:33], v[168:169]
	v_fma_f64 v[36:37], v[42:43], s[4:5], v[36:37]
	v_fma_f64 v[34:35], v[42:43], s[20:21], v[34:35]
	v_add_f64 v[32:33], v[32:33], v[170:171]
	v_fma_f64 v[40:41], v[44:45], s[14:15], v[36:37]
	v_fma_f64 v[36:37], v[44:45], s[14:15], v[34:35]
	v_add_f64 v[34:35], v[166:167], v[172:173]
	v_add_f64 v[32:33], v[32:33], v[172:173]
	v_fma_f64 v[34:35], v[34:35], -0.5, v[240:241]
	v_fma_f64 v[44:45], v[42:43], s[16:17], v[34:35]
	v_fma_f64 v[34:35], v[42:43], s[18:19], v[34:35]
	;; [unrolled: 1-line block ×4, first 2 shown]
	v_add_f64 v[38:39], v[72:73], v[68:69]
	v_fma_f64 v[44:45], v[46:47], s[14:15], v[44:45]
	v_fma_f64 v[240:241], v[46:47], s[14:15], v[34:35]
	v_fma_f64 v[38:39], v[38:39], -0.5, v[242:243]
	v_add_f64 v[46:47], v[76:77], -v[72:73]
	v_add_f64 v[34:35], v[242:243], v[76:77]
	v_fma_f64 v[42:43], v[48:49], s[16:17], v[38:39]
	v_fma_f64 v[38:39], v[48:49], s[18:19], v[38:39]
	v_add_f64 v[46:47], v[46:47], v[52:53]
	v_add_f64 v[34:35], v[34:35], v[72:73]
	v_add_f64 v[72:73], v[174:175], -v[128:129]
	v_fma_f64 v[42:43], v[50:51], s[20:21], v[42:43]
	v_fma_f64 v[38:39], v[50:51], s[4:5], v[38:39]
	v_add_f64 v[34:35], v[34:35], v[68:69]
	v_add_f64 v[68:69], v[162:163], -v[202:203]
	v_fma_f64 v[42:43], v[46:47], s[14:15], v[42:43]
	v_fma_f64 v[38:39], v[46:47], s[14:15], v[38:39]
	v_add_f64 v[46:47], v[76:77], v[88:89]
	v_add_f64 v[34:35], v[34:35], v[88:89]
	;; [unrolled: 1-line block ×3, first 2 shown]
	v_add_f64 v[72:73], v[162:163], -v[174:175]
	v_add_f64 v[76:77], v[64:65], -v[92:93]
	v_add_f64 v[88:89], v[200:201], -v[62:63]
	v_fma_f64 v[52:53], v[46:47], -0.5, v[242:243]
	v_add_f64 v[76:77], v[76:77], v[88:89]
	v_fma_f64 v[46:47], v[50:51], s[18:19], v[52:53]
	v_fma_f64 v[50:51], v[50:51], s[16:17], v[52:53]
	;; [unrolled: 1-line block ×4, first 2 shown]
	v_add_f64 v[50:51], v[162:163], v[174:175]
	v_fma_f64 v[46:47], v[54:55], s[14:15], v[46:47]
	v_fma_f64 v[242:243], v[54:55], s[14:15], v[48:49]
	v_fma_f64 v[50:51], v[50:51], -0.5, v[236:237]
	v_add_f64 v[54:55], v[64:65], -v[200:201]
	v_add_f64 v[48:49], v[236:237], v[202:203]
	v_fma_f64 v[52:53], v[54:55], s[18:19], v[50:51]
	v_fma_f64 v[50:51], v[54:55], s[16:17], v[50:51]
	v_add_f64 v[48:49], v[48:49], v[162:163]
	v_fma_f64 v[52:53], v[58:59], s[4:5], v[52:53]
	v_fma_f64 v[50:51], v[58:59], s[20:21], v[50:51]
	;; [unrolled: 3-line block ×3, first 2 shown]
	v_add_f64 v[50:51], v[202:203], v[128:129]
	v_add_f64 v[48:49], v[48:49], v[128:129]
	v_fma_f64 v[50:51], v[50:51], -0.5, v[236:237]
	v_fma_f64 v[60:61], v[58:59], s[16:17], v[50:51]
	v_fma_f64 v[50:51], v[58:59], s[18:19], v[50:51]
	;; [unrolled: 1-line block ×4, first 2 shown]
	v_add_f64 v[54:55], v[92:93], v[62:63]
	v_fma_f64 v[60:61], v[68:69], s[14:15], v[60:61]
	v_fma_f64 v[236:237], v[68:69], s[14:15], v[50:51]
	v_fma_f64 v[54:55], v[54:55], -0.5, v[238:239]
	v_add_f64 v[68:69], v[202:203], -v[128:129]
	v_add_f64 v[50:51], v[238:239], v[64:65]
	v_add_f64 v[128:129], v[120:121], -v[122:123]
	v_fma_f64 v[58:59], v[68:69], s[16:17], v[54:55]
	v_fma_f64 v[54:55], v[68:69], s[18:19], v[54:55]
	v_add_f64 v[50:51], v[50:51], v[92:93]
	v_add_f64 v[126:127], v[126:127], v[128:129]
	v_add_f64 v[128:129], v[114:115], -v[112:113]
	v_fma_f64 v[58:59], v[72:73], s[20:21], v[58:59]
	v_fma_f64 v[54:55], v[72:73], s[4:5], v[54:55]
	v_add_f64 v[50:51], v[50:51], v[62:63]
	v_add_f64 v[62:63], v[62:63], -v[200:201]
	v_fma_f64 v[58:59], v[76:77], s[14:15], v[58:59]
	v_fma_f64 v[54:55], v[76:77], s[14:15], v[54:55]
	v_add_f64 v[76:77], v[64:65], v[200:201]
	v_add_f64 v[64:65], v[92:93], -v[64:65]
	v_add_f64 v[50:51], v[50:51], v[200:201]
	v_add_f64 v[92:93], v[96:97], -v[84:85]
	v_fma_f64 v[76:77], v[76:77], -0.5, v[238:239]
	v_add_f64 v[64:65], v[64:65], v[62:63]
	v_fma_f64 v[88:89], v[72:73], s[18:19], v[76:77]
	v_fma_f64 v[72:73], v[72:73], s[16:17], v[76:77]
	v_add_f64 v[76:77], v[66:67], -v[70:71]
	v_fma_f64 v[88:89], v[68:69], s[20:21], v[88:89]
	v_fma_f64 v[68:69], v[68:69], s[4:5], v[72:73]
	v_add_f64 v[72:73], v[74:75], -v[82:83]
	v_add_f64 v[76:77], v[76:77], v[92:93]
	v_fma_f64 v[62:63], v[64:65], s[14:15], v[88:89]
	v_fma_f64 v[238:239], v[64:65], s[14:15], v[68:69]
	v_add_f64 v[64:65], v[232:233], v[66:67]
	v_add_f64 v[88:89], v[78:79], -v[80:81]
	v_add_f64 v[64:65], v[64:65], v[70:71]
	v_add_f64 v[64:65], v[64:65], v[84:85]
	;; [unrolled: 1-line block ×4, first 2 shown]
	v_add_f64 v[84:85], v[70:71], -v[84:85]
	v_add_f64 v[70:71], v[74:75], -v[78:79]
	v_fma_f64 v[64:65], v[64:65], -0.5, v[232:233]
	v_fma_f64 v[68:69], v[72:73], s[18:19], v[64:65]
	v_fma_f64 v[64:65], v[72:73], s[16:17], v[64:65]
	;; [unrolled: 1-line block ×6, first 2 shown]
	v_add_f64 v[76:77], v[66:67], v[96:97]
	v_fma_f64 v[92:93], v[76:77], -0.5, v[232:233]
	v_fma_f64 v[76:77], v[88:89], s[16:17], v[92:93]
	v_fma_f64 v[88:89], v[88:89], s[18:19], v[92:93]
	v_add_f64 v[92:93], v[66:67], -v[96:97]
	v_add_f64 v[96:97], v[82:83], -v[80:81]
	v_fma_f64 v[76:77], v[72:73], s[4:5], v[76:77]
	v_fma_f64 v[72:73], v[72:73], s[20:21], v[88:89]
	v_add_f64 v[88:89], v[234:235], v[74:75]
	v_add_f64 v[96:97], v[70:71], v[96:97]
	v_fma_f64 v[76:77], v[124:125], s[14:15], v[76:77]
	v_fma_f64 v[72:73], v[124:125], s[14:15], v[72:73]
	v_add_f64 v[88:89], v[88:89], v[78:79]
	v_add_f64 v[124:125], v[98:99], -v[116:117]
	v_add_f64 v[88:89], v[88:89], v[80:81]
	v_add_f64 v[202:203], v[88:89], v[82:83]
	;; [unrolled: 1-line block ×3, first 2 shown]
	v_fma_f64 v[88:89], v[88:89], -0.5, v[234:235]
	v_fma_f64 v[66:67], v[92:93], s[16:17], v[88:89]
	v_fma_f64 v[66:67], v[84:85], s[20:21], v[66:67]
	;; [unrolled: 1-line block ×4, first 2 shown]
	v_add_f64 v[88:89], v[74:75], v[82:83]
	v_add_f64 v[74:75], v[78:79], -v[74:75]
	v_add_f64 v[78:79], v[80:81], -v[82:83]
	v_add_f64 v[82:83], v[90:91], v[120:121]
	v_fma_f64 v[66:67], v[84:85], s[4:5], v[66:67]
	v_fma_f64 v[88:89], v[88:89], -0.5, v[234:235]
	v_add_f64 v[74:75], v[74:75], v[78:79]
	v_fma_f64 v[82:83], v[82:83], -0.5, v[208:209]
	v_fma_f64 v[66:67], v[96:97], s[14:15], v[66:67]
	v_fma_f64 v[96:97], v[84:85], s[18:19], v[88:89]
	;; [unrolled: 1-line block ×3, first 2 shown]
	v_add_f64 v[88:89], v[86:87], -v[90:91]
	v_fma_f64 v[96:97], v[92:93], s[20:21], v[96:97]
	v_fma_f64 v[80:81], v[92:93], s[4:5], v[80:81]
	v_add_f64 v[92:93], v[94:95], -v[118:119]
	v_fma_f64 v[78:79], v[74:75], s[14:15], v[96:97]
	v_add_f64 v[96:97], v[122:123], -v[120:121]
	v_fma_f64 v[84:85], v[92:93], s[18:19], v[82:83]
	v_fma_f64 v[82:83], v[92:93], s[16:17], v[82:83]
	;; [unrolled: 1-line block ×3, first 2 shown]
	v_add_f64 v[80:81], v[208:209], v[86:87]
	v_add_f64 v[96:97], v[88:89], v[96:97]
	v_fma_f64 v[84:85], v[124:125], s[4:5], v[84:85]
	v_fma_f64 v[82:83], v[124:125], s[20:21], v[82:83]
	v_add_f64 v[80:81], v[80:81], v[90:91]
	v_fma_f64 v[88:89], v[96:97], s[14:15], v[84:85]
	v_fma_f64 v[84:85], v[96:97], s[14:15], v[82:83]
	v_add_f64 v[82:83], v[86:87], v[122:123]
	v_add_f64 v[80:81], v[80:81], v[120:121]
	v_add_f64 v[120:121], v[90:91], -v[120:121]
	v_add_f64 v[90:91], v[94:95], -v[98:99]
	v_fma_f64 v[82:83], v[82:83], -0.5, v[208:209]
	v_add_f64 v[80:81], v[80:81], v[122:123]
	v_add_f64 v[122:123], v[86:87], -v[122:123]
	v_fma_f64 v[96:97], v[124:125], s[16:17], v[82:83]
	v_fma_f64 v[82:83], v[124:125], s[18:19], v[82:83]
	v_add_f64 v[124:125], v[98:99], v[116:117]
	v_fma_f64 v[96:97], v[92:93], s[4:5], v[96:97]
	v_fma_f64 v[82:83], v[92:93], s[20:21], v[82:83]
	v_fma_f64 v[124:125], v[124:125], -0.5, v[210:211]
	v_fma_f64 v[96:97], v[126:127], s[14:15], v[96:97]
	v_fma_f64 v[92:93], v[126:127], s[14:15], v[82:83]
	v_fma_f64 v[86:87], v[122:123], s[16:17], v[124:125]
	v_add_f64 v[126:127], v[118:119], -v[116:117]
	v_add_f64 v[82:83], v[210:211], v[94:95]
	v_fma_f64 v[86:87], v[120:121], s[20:21], v[86:87]
	v_add_f64 v[126:127], v[90:91], v[126:127]
	v_add_f64 v[82:83], v[82:83], v[98:99]
	v_fma_f64 v[90:91], v[126:127], s[14:15], v[86:87]
	v_fma_f64 v[86:87], v[122:123], s[18:19], v[124:125]
	v_add_f64 v[124:125], v[94:95], v[118:119]
	v_add_f64 v[82:83], v[82:83], v[116:117]
	v_add_f64 v[94:95], v[98:99], -v[94:95]
	v_add_f64 v[98:99], v[116:117], -v[118:119]
	v_fma_f64 v[86:87], v[120:121], s[4:5], v[86:87]
	v_fma_f64 v[124:125], v[124:125], -0.5, v[210:211]
	v_add_f64 v[82:83], v[82:83], v[118:119]
	v_add_f64 v[118:119], v[110:111], v[112:113]
	;; [unrolled: 1-line block ×3, first 2 shown]
	v_fma_f64 v[86:87], v[126:127], s[14:15], v[86:87]
	v_fma_f64 v[126:127], v[120:121], s[18:19], v[124:125]
	;; [unrolled: 1-line block ×3, first 2 shown]
	v_fma_f64 v[118:119], v[118:119], -0.5, v[204:205]
	v_add_f64 v[124:125], v[102:103], -v[104:105]
	v_fma_f64 v[126:127], v[122:123], s[20:21], v[126:127]
	v_fma_f64 v[116:117], v[122:123], s[4:5], v[116:117]
	v_add_f64 v[122:123], v[100:101], -v[106:107]
	v_fma_f64 v[98:99], v[94:95], s[14:15], v[126:127]
	v_add_f64 v[126:127], v[108:109], -v[110:111]
	v_fma_f64 v[120:121], v[122:123], s[18:19], v[118:119]
	v_fma_f64 v[118:119], v[122:123], s[16:17], v[118:119]
	;; [unrolled: 1-line block ×3, first 2 shown]
	v_add_f64 v[116:117], v[204:205], v[108:109]
	v_add_f64 v[126:127], v[126:127], v[128:129]
	v_fma_f64 v[120:121], v[124:125], s[4:5], v[120:121]
	v_fma_f64 v[118:119], v[124:125], s[20:21], v[118:119]
	v_add_f64 v[128:129], v[110:111], -v[108:109]
	v_add_f64 v[116:117], v[116:117], v[110:111]
	v_add_f64 v[110:111], v[110:111], -v[112:113]
	v_fma_f64 v[120:121], v[126:127], s[14:15], v[120:121]
	v_fma_f64 v[232:233], v[126:127], s[14:15], v[118:119]
	v_add_f64 v[118:119], v[108:109], v[114:115]
	v_add_f64 v[116:117], v[116:117], v[112:113]
	v_add_f64 v[108:109], v[108:109], -v[114:115]
	v_add_f64 v[128:129], v[128:129], v[130:131]
	v_fma_f64 v[118:119], v[118:119], -0.5, v[204:205]
	v_add_f64 v[116:117], v[116:117], v[114:115]
	v_fma_f64 v[126:127], v[124:125], s[16:17], v[118:119]
	v_fma_f64 v[118:119], v[124:125], s[18:19], v[118:119]
	;; [unrolled: 1-line block ×4, first 2 shown]
	v_add_f64 v[122:123], v[102:103], v[104:105]
	v_fma_f64 v[204:205], v[128:129], s[14:15], v[126:127]
	v_fma_f64 v[208:209], v[128:129], s[14:15], v[118:119]
	v_fma_f64 v[124:125], v[122:123], -0.5, v[206:207]
	v_add_f64 v[122:123], v[106:107], -v[104:105]
	v_add_f64 v[118:119], v[206:207], v[100:101]
	v_fma_f64 v[114:115], v[108:109], s[16:17], v[124:125]
	v_add_f64 v[118:119], v[118:119], v[102:103]
	v_fma_f64 v[112:113], v[110:111], s[20:21], v[114:115]
	v_add_f64 v[114:115], v[100:101], -v[102:103]
	v_add_f64 v[118:119], v[118:119], v[104:105]
	v_add_f64 v[114:115], v[114:115], v[122:123]
	;; [unrolled: 1-line block ×3, first 2 shown]
	v_fma_f64 v[122:123], v[114:115], s[14:15], v[112:113]
	v_fma_f64 v[112:113], v[108:109], s[18:19], v[124:125]
	;; [unrolled: 1-line block ×4, first 2 shown]
	v_add_f64 v[112:113], v[100:101], v[106:107]
	v_add_f64 v[100:101], v[102:103], -v[100:101]
	v_add_f64 v[102:103], v[104:105], -v[106:107]
	v_fma_f64 v[112:113], v[112:113], -0.5, v[206:207]
	v_add_f64 v[100:101], v[100:101], v[102:103]
	v_fma_f64 v[114:115], v[110:111], s[18:19], v[112:113]
	v_fma_f64 v[102:103], v[110:111], s[16:17], v[112:113]
	;; [unrolled: 1-line block ×6, first 2 shown]
	ds_write_b128 v212, v[244:247]
	ds_write_b128 v212, v[0:3] offset:6272
	ds_write_b128 v212, v[8:11] offset:12544
	;; [unrolled: 1-line block ×34, first 2 shown]
	s_waitcnt vmcnt(0)
	v_lshlrev_b32_e32 v24, 4, v196
	s_waitcnt lgkmcnt(0)
	s_waitcnt_vscnt null, 0x0
	s_barrier
	buffer_gl0_inv
	ds_read_b128 v[2:5], v212
	global_load_dwordx4 v[6:9], v24, s[12:13]
	v_add_co_u32 v0, s1, s12, v24
	v_add_co_ci_u32_e64 v1, null, s13, 0, s1
	s_waitcnt vmcnt(0) lgkmcnt(0)
	v_mul_f64 v[10:11], v[4:5], v[8:9]
	v_fma_f64 v[10:11], v[2:3], v[6:7], -v[10:11]
	v_mul_f64 v[2:3], v[2:3], v[8:9]
	v_add_co_u32 v8, s1, 0x1800, v0
	v_add_co_ci_u32_e64 v9, s1, 0, v1, s1
	v_fma_f64 v[12:13], v[4:5], v[6:7], v[2:3]
	ds_read_b128 v[2:5], v212 offset:7840
	ds_write_b128 v212, v[10:13]
	global_load_dwordx4 v[10:13], v[8:9], off offset:1696
	s_waitcnt vmcnt(0) lgkmcnt(1)
	v_mul_f64 v[6:7], v[4:5], v[12:13]
	v_fma_f64 v[14:15], v[2:3], v[10:11], -v[6:7]
	v_mul_f64 v[2:3], v[2:3], v[12:13]
	v_add_co_u32 v6, s1, 0x3800, v0
	v_add_co_ci_u32_e64 v7, s1, 0, v1, s1
	v_fma_f64 v[16:17], v[4:5], v[10:11], v[2:3]
	global_load_dwordx4 v[10:13], v[6:7], off offset:1344
	ds_read_b128 v[2:5], v212 offset:15680
	ds_write_b128 v212, v[14:17] offset:7840
	s_waitcnt vmcnt(0) lgkmcnt(1)
	v_mul_f64 v[14:15], v[4:5], v[12:13]
	v_fma_f64 v[14:15], v[2:3], v[10:11], -v[14:15]
	v_mul_f64 v[2:3], v[2:3], v[12:13]
	v_fma_f64 v[16:17], v[4:5], v[10:11], v[2:3]
	v_add_co_u32 v4, s1, 0x5800, v0
	v_add_co_ci_u32_e64 v5, s1, 0, v1, s1
	ds_read_b128 v[10:13], v212 offset:23520
	ds_write_b128 v212, v[14:17] offset:15680
	global_load_dwordx4 v[14:17], v[4:5], off offset:992
	s_waitcnt vmcnt(0) lgkmcnt(1)
	v_mul_f64 v[2:3], v[12:13], v[16:17]
	v_fma_f64 v[18:19], v[10:11], v[14:15], -v[2:3]
	v_mul_f64 v[2:3], v[10:11], v[16:17]
	v_fma_f64 v[20:21], v[12:13], v[14:15], v[2:3]
	global_load_dwordx4 v[14:17], v24, s[12:13] offset:896
	ds_read_b128 v[10:13], v212 offset:896
	ds_write_b128 v212, v[18:21] offset:23520
	s_waitcnt vmcnt(0) lgkmcnt(1)
	v_mul_f64 v[2:3], v[12:13], v[16:17]
	v_fma_f64 v[18:19], v[10:11], v[14:15], -v[2:3]
	v_mul_f64 v[2:3], v[10:11], v[16:17]
	v_fma_f64 v[20:21], v[12:13], v[14:15], v[2:3]
	v_add_co_u32 v2, s1, 0x2000, v0
	v_add_co_ci_u32_e64 v3, s1, 0, v1, s1
	ds_read_b128 v[10:13], v212 offset:8736
	v_add_co_u32 v22, s1, 0x4000, v0
	global_load_dwordx4 v[14:17], v[2:3], off offset:544
	v_add_co_ci_u32_e64 v23, s1, 0, v1, s1
	ds_write_b128 v212, v[18:21] offset:896
	s_waitcnt vmcnt(0) lgkmcnt(1)
	v_mul_f64 v[18:19], v[12:13], v[16:17]
	v_fma_f64 v[18:19], v[10:11], v[14:15], -v[18:19]
	v_mul_f64 v[10:11], v[10:11], v[16:17]
	v_fma_f64 v[20:21], v[12:13], v[14:15], v[10:11]
	global_load_dwordx4 v[14:17], v[22:23], off offset:192
	ds_read_b128 v[10:13], v212 offset:16576
	ds_write_b128 v212, v[18:21] offset:8736
	s_waitcnt vmcnt(0) lgkmcnt(1)
	v_mul_f64 v[18:19], v[12:13], v[16:17]
	v_fma_f64 v[18:19], v[10:11], v[14:15], -v[18:19]
	v_mul_f64 v[10:11], v[10:11], v[16:17]
	v_fma_f64 v[20:21], v[12:13], v[14:15], v[10:11]
	global_load_dwordx4 v[14:17], v[4:5], off offset:1888
	ds_read_b128 v[10:13], v212 offset:24416
	ds_write_b128 v212, v[18:21] offset:16576
	s_waitcnt vmcnt(0) lgkmcnt(1)
	v_mul_f64 v[18:19], v[12:13], v[16:17]
	v_fma_f64 v[18:19], v[10:11], v[14:15], -v[18:19]
	v_mul_f64 v[10:11], v[10:11], v[16:17]
	v_fma_f64 v[20:21], v[12:13], v[14:15], v[10:11]
	global_load_dwordx4 v[14:17], v24, s[12:13] offset:1792
	ds_read_b128 v[10:13], v212 offset:1792
	ds_write_b128 v212, v[18:21] offset:24416
	s_waitcnt vmcnt(0) lgkmcnt(1)
	v_mul_f64 v[18:19], v[12:13], v[16:17]
	v_fma_f64 v[18:19], v[10:11], v[14:15], -v[18:19]
	v_mul_f64 v[10:11], v[10:11], v[16:17]
	v_fma_f64 v[20:21], v[12:13], v[14:15], v[10:11]
	global_load_dwordx4 v[14:17], v[2:3], off offset:1440
	ds_read_b128 v[10:13], v212 offset:9632
	ds_write_b128 v212, v[18:21] offset:1792
	s_waitcnt vmcnt(0) lgkmcnt(1)
	v_mul_f64 v[2:3], v[12:13], v[16:17]
	v_fma_f64 v[18:19], v[10:11], v[14:15], -v[2:3]
	v_mul_f64 v[2:3], v[10:11], v[16:17]
	v_fma_f64 v[20:21], v[12:13], v[14:15], v[2:3]
	global_load_dwordx4 v[14:17], v[22:23], off offset:1088
	ds_read_b128 v[10:13], v212 offset:17472
	ds_write_b128 v212, v[18:21] offset:9632
	s_waitcnt vmcnt(0) lgkmcnt(1)
	v_mul_f64 v[2:3], v[12:13], v[16:17]
	v_fma_f64 v[18:19], v[10:11], v[14:15], -v[2:3]
	v_mul_f64 v[2:3], v[10:11], v[16:17]
	v_fma_f64 v[20:21], v[12:13], v[14:15], v[2:3]
	v_add_co_u32 v2, s1, 0x6000, v0
	v_add_co_ci_u32_e64 v3, s1, 0, v1, s1
	ds_read_b128 v[10:13], v212 offset:25312
	v_add_co_u32 v24, s1, 0x800, v0
	global_load_dwordx4 v[14:17], v[2:3], off offset:736
	v_add_co_ci_u32_e64 v25, s1, 0, v1, s1
	v_add_co_u32 v26, s1, 0x2800, v0
	v_add_co_ci_u32_e64 v27, s1, 0, v1, s1
	ds_write_b128 v212, v[18:21] offset:17472
	s_waitcnt vmcnt(0) lgkmcnt(1)
	v_mul_f64 v[18:19], v[12:13], v[16:17]
	v_fma_f64 v[18:19], v[10:11], v[14:15], -v[18:19]
	v_mul_f64 v[10:11], v[10:11], v[16:17]
	v_fma_f64 v[20:21], v[12:13], v[14:15], v[10:11]
	global_load_dwordx4 v[14:17], v[24:25], off offset:640
	ds_read_b128 v[10:13], v212 offset:2688
	ds_write_b128 v212, v[18:21] offset:25312
	s_waitcnt vmcnt(0) lgkmcnt(1)
	v_mul_f64 v[18:19], v[12:13], v[16:17]
	v_fma_f64 v[18:19], v[10:11], v[14:15], -v[18:19]
	v_mul_f64 v[10:11], v[10:11], v[16:17]
	v_fma_f64 v[20:21], v[12:13], v[14:15], v[10:11]
	global_load_dwordx4 v[14:17], v[26:27], off offset:288
	ds_read_b128 v[10:13], v212 offset:10528
	;; [unrolled: 8-line block ×6, first 2 shown]
	ds_write_b128 v212, v[18:21] offset:3584
	s_waitcnt vmcnt(0) lgkmcnt(1)
	v_mul_f64 v[2:3], v[12:13], v[16:17]
	v_fma_f64 v[18:19], v[10:11], v[14:15], -v[2:3]
	v_mul_f64 v[2:3], v[10:11], v[16:17]
	v_fma_f64 v[20:21], v[12:13], v[14:15], v[2:3]
	v_add_co_u32 v2, s1, 0x4800, v0
	v_add_co_ci_u32_e64 v3, s1, 0, v1, s1
	ds_read_b128 v[10:13], v212 offset:19264
	v_add_co_u32 v24, s1, 0x6800, v0
	global_load_dwordx4 v[14:17], v[2:3], off offset:832
	v_add_co_ci_u32_e64 v25, s1, 0, v1, s1
	v_add_co_u32 v26, s1, 0x1000, v0
	v_add_co_ci_u32_e64 v27, s1, 0, v1, s1
	ds_write_b128 v212, v[18:21] offset:11424
	s_waitcnt vmcnt(0) lgkmcnt(1)
	v_mul_f64 v[18:19], v[12:13], v[16:17]
	v_fma_f64 v[18:19], v[10:11], v[14:15], -v[18:19]
	v_mul_f64 v[10:11], v[10:11], v[16:17]
	v_fma_f64 v[20:21], v[12:13], v[14:15], v[10:11]
	global_load_dwordx4 v[14:17], v[24:25], off offset:480
	ds_read_b128 v[10:13], v212 offset:27104
	ds_write_b128 v212, v[18:21] offset:19264
	s_waitcnt vmcnt(0) lgkmcnt(1)
	v_mul_f64 v[18:19], v[12:13], v[16:17]
	v_fma_f64 v[18:19], v[10:11], v[14:15], -v[18:19]
	v_mul_f64 v[10:11], v[10:11], v[16:17]
	v_fma_f64 v[20:21], v[12:13], v[14:15], v[10:11]
	global_load_dwordx4 v[14:17], v[26:27], off offset:384
	ds_read_b128 v[10:13], v212 offset:4480
	ds_write_b128 v212, v[18:21] offset:27104
	s_waitcnt vmcnt(0) lgkmcnt(1)
	v_mul_f64 v[18:19], v[12:13], v[16:17]
	v_fma_f64 v[18:19], v[10:11], v[14:15], -v[18:19]
	v_mul_f64 v[10:11], v[10:11], v[16:17]
	v_fma_f64 v[20:21], v[12:13], v[14:15], v[10:11]
	v_add_co_u32 v14, s1, 0x3000, v0
	v_add_co_ci_u32_e64 v15, s1, 0, v1, s1
	ds_read_b128 v[10:13], v212 offset:12320
	ds_write_b128 v212, v[18:21] offset:4480
	global_load_dwordx4 v[16:19], v[14:15], off offset:32
	s_waitcnt vmcnt(0) lgkmcnt(1)
	v_mul_f64 v[20:21], v[12:13], v[18:19]
	v_fma_f64 v[20:21], v[10:11], v[16:17], -v[20:21]
	v_mul_f64 v[10:11], v[10:11], v[18:19]
	v_fma_f64 v[22:23], v[12:13], v[16:17], v[10:11]
	global_load_dwordx4 v[16:19], v[2:3], off offset:1728
	ds_read_b128 v[10:13], v212 offset:20160
	ds_write_b128 v212, v[20:23] offset:12320
	s_waitcnt vmcnt(0) lgkmcnt(1)
	v_mul_f64 v[2:3], v[12:13], v[18:19]
	v_fma_f64 v[20:21], v[10:11], v[16:17], -v[2:3]
	v_mul_f64 v[2:3], v[10:11], v[18:19]
	v_fma_f64 v[22:23], v[12:13], v[16:17], v[2:3]
	global_load_dwordx4 v[16:19], v[24:25], off offset:1376
	ds_read_b128 v[10:13], v212 offset:28000
	ds_write_b128 v212, v[20:23] offset:20160
	;; [unrolled: 8-line block ×4, first 2 shown]
	s_waitcnt vmcnt(0) lgkmcnt(1)
	v_mul_f64 v[2:3], v[12:13], v[18:19]
	v_fma_f64 v[20:21], v[10:11], v[16:17], -v[2:3]
	v_mul_f64 v[2:3], v[10:11], v[18:19]
	v_fma_f64 v[22:23], v[12:13], v[16:17], v[2:3]
	v_add_co_u32 v12, s1, 0x5000, v0
	v_add_co_ci_u32_e64 v13, s1, 0, v1, s1
	ds_read_b128 v[16:19], v212 offset:21056
	v_add_co_u32 v10, s1, 0x7000, v0
	v_add_co_ci_u32_e64 v11, s1, 0, v1, s1
	ds_write_b128 v212, v[20:23] offset:13216
	global_load_dwordx4 v[20:23], v[12:13], off offset:576
	s_waitcnt vmcnt(0) lgkmcnt(1)
	v_mul_f64 v[2:3], v[18:19], v[22:23]
	v_fma_f64 v[24:25], v[16:17], v[20:21], -v[2:3]
	v_mul_f64 v[2:3], v[16:17], v[22:23]
	v_fma_f64 v[26:27], v[18:19], v[20:21], v[2:3]
	global_load_dwordx4 v[0:3], v[10:11], off offset:224
	ds_read_b128 v[16:19], v212 offset:28896
	ds_write_b128 v212, v[24:27] offset:21056
	s_waitcnt vmcnt(0) lgkmcnt(1)
	v_mul_f64 v[20:21], v[18:19], v[2:3]
	v_mul_f64 v[2:3], v[16:17], v[2:3]
	v_fma_f64 v[20:21], v[16:17], v[0:1], -v[20:21]
	v_fma_f64 v[22:23], v[18:19], v[0:1], v[2:3]
	global_load_dwordx4 v[16:19], v[8:9], off offset:128
	ds_read_b128 v[0:3], v212 offset:6272
	ds_write_b128 v212, v[20:23] offset:28896
	s_waitcnt vmcnt(0) lgkmcnt(1)
	v_mul_f64 v[8:9], v[2:3], v[18:19]
	v_fma_f64 v[20:21], v[0:1], v[16:17], -v[8:9]
	v_mul_f64 v[0:1], v[0:1], v[18:19]
	v_fma_f64 v[22:23], v[2:3], v[16:17], v[0:1]
	global_load_dwordx4 v[14:17], v[14:15], off offset:1824
	ds_read_b128 v[0:3], v212 offset:14112
	ds_write_b128 v212, v[20:23] offset:6272
	s_waitcnt vmcnt(0) lgkmcnt(1)
	v_mul_f64 v[8:9], v[2:3], v[16:17]
	v_fma_f64 v[18:19], v[0:1], v[14:15], -v[8:9]
	v_mul_f64 v[0:1], v[0:1], v[16:17]
	;; [unrolled: 8-line block ×4, first 2 shown]
	v_fma_f64 v[18:19], v[2:3], v[12:13], v[0:1]
	ds_write_b128 v212, v[16:19] offset:29792
	s_and_saveexec_b32 s1, vcc_lo
	s_cbranch_execz .LBB0_13
; %bb.12:
	buffer_load_dword v8, off, s[36:39], 0 offset:28 ; 4-byte Folded Reload
	ds_read_b128 v[0:3], v212 offset:7168
	s_waitcnt vmcnt(0)
	global_load_dwordx4 v[12:15], v8, s[12:13]
	s_waitcnt vmcnt(0) lgkmcnt(0)
	v_mul_f64 v[8:9], v[2:3], v[14:15]
	v_fma_f64 v[16:17], v[0:1], v[12:13], -v[8:9]
	global_load_dwordx4 v[6:9], v[6:7], off offset:672
	v_mul_f64 v[0:1], v[0:1], v[14:15]
	v_fma_f64 v[18:19], v[2:3], v[12:13], v[0:1]
	ds_read_b128 v[0:3], v212 offset:15008
	ds_write_b128 v212, v[16:19] offset:7168
	s_waitcnt vmcnt(0) lgkmcnt(1)
	v_mul_f64 v[12:13], v[2:3], v[8:9]
	v_fma_f64 v[12:13], v[0:1], v[6:7], -v[12:13]
	v_mul_f64 v[0:1], v[0:1], v[8:9]
	v_fma_f64 v[14:15], v[2:3], v[6:7], v[0:1]
	global_load_dwordx4 v[4:7], v[4:5], off offset:320
	ds_read_b128 v[0:3], v212 offset:22848
	ds_write_b128 v212, v[12:15] offset:15008
	s_waitcnt vmcnt(0) lgkmcnt(1)
	v_mul_f64 v[8:9], v[2:3], v[6:7]
	v_fma_f64 v[12:13], v[0:1], v[4:5], -v[8:9]
	v_mul_f64 v[0:1], v[0:1], v[6:7]
	v_fma_f64 v[14:15], v[2:3], v[4:5], v[0:1]
	global_load_dwordx4 v[4:7], v[10:11], off offset:2016
	ds_read_b128 v[0:3], v212 offset:30688
	ds_write_b128 v212, v[12:15] offset:22848
	s_waitcnt vmcnt(0) lgkmcnt(1)
	v_mul_f64 v[8:9], v[2:3], v[6:7]
	v_fma_f64 v[8:9], v[0:1], v[4:5], -v[8:9]
	v_mul_f64 v[0:1], v[0:1], v[6:7]
	v_fma_f64 v[10:11], v[2:3], v[4:5], v[0:1]
	ds_write_b128 v212, v[8:11] offset:30688
.LBB0_13:
	s_or_b32 exec_lo, exec_lo, s1
	s_waitcnt lgkmcnt(0)
	s_barrier
	buffer_gl0_inv
	ds_read_b128 v[32:35], v212
	ds_read_b128 v[56:59], v212 offset:896
	ds_read_b128 v[28:31], v212 offset:7840
	;; [unrolled: 1-line block ×31, first 2 shown]
	s_and_saveexec_b32 s1, vcc_lo
	s_cbranch_execz .LBB0_15
; %bb.14:
	ds_read_b128 v[204:207], v212 offset:7168
	ds_read_b128 v[208:211], v212 offset:15008
	;; [unrolled: 1-line block ×4, first 2 shown]
.LBB0_15:
	s_or_b32 exec_lo, exec_lo, s1
	s_waitcnt lgkmcnt(0)
	s_barrier
	buffer_gl0_inv
	buffer_load_dword v120, off, s[36:39], 0 offset:592 ; 4-byte Folded Reload
	v_add_f64 v[112:113], v[32:33], -v[44:45]
	v_add_f64 v[114:115], v[34:35], -v[46:47]
	;; [unrolled: 1-line block ×12, first 2 shown]
	v_fma_f64 v[44:45], v[32:33], 2.0, -v[112:113]
	v_fma_f64 v[46:47], v[34:35], 2.0, -v[114:115]
	;; [unrolled: 1-line block ×12, first 2 shown]
	v_add_f64 v[32:33], v[44:45], -v[28:29]
	v_add_f64 v[34:35], v[46:47], -v[30:31]
	v_add_f64 v[28:29], v[112:113], v[42:43]
	v_add_f64 v[30:31], v[114:115], -v[40:41]
	v_fma_f64 v[44:45], v[44:45], 2.0, -v[32:33]
	v_fma_f64 v[46:47], v[46:47], 2.0, -v[34:35]
	;; [unrolled: 1-line block ×4, first 2 shown]
	v_add_f64 v[112:113], v[56:57], -v[60:61]
	v_add_f64 v[114:115], v[58:59], -v[62:63]
	s_waitcnt vmcnt(0)
	ds_write_b128 v120, v[44:47]
	ds_write_b128 v120, v[40:43] offset:16
	ds_write_b128 v120, v[32:35] offset:32
	;; [unrolled: 1-line block ×3, first 2 shown]
	buffer_load_dword v28, off, s[36:39], 0 offset:644 ; 4-byte Folded Reload
	v_fma_f64 v[56:57], v[56:57], 2.0, -v[112:113]
	v_fma_f64 v[58:59], v[58:59], 2.0, -v[114:115]
	v_add_f64 v[52:53], v[56:57], -v[48:49]
	v_add_f64 v[54:55], v[58:59], -v[50:51]
	v_add_f64 v[48:49], v[112:113], v[118:119]
	v_add_f64 v[50:51], v[114:115], -v[116:117]
	v_add_f64 v[116:117], v[100:101], -v[104:105]
	;; [unrolled: 1-line block ×3, first 2 shown]
	v_fma_f64 v[60:61], v[56:57], 2.0, -v[52:53]
	v_fma_f64 v[62:63], v[58:59], 2.0, -v[54:55]
	;; [unrolled: 1-line block ×4, first 2 shown]
	v_add_f64 v[112:113], v[80:81], -v[92:93]
	v_add_f64 v[114:115], v[82:83], -v[94:95]
	v_fma_f64 v[100:101], v[100:101], 2.0, -v[116:117]
	v_fma_f64 v[102:103], v[102:103], 2.0, -v[118:119]
	s_waitcnt vmcnt(0)
	ds_write_b128 v28, v[60:63]
	ds_write_b128 v28, v[56:59] offset:16
	ds_write_b128 v28, v[52:55] offset:32
	;; [unrolled: 1-line block ×3, first 2 shown]
	buffer_load_dword v28, off, s[36:39], 0 offset:648 ; 4-byte Folded Reload
	v_fma_f64 v[92:93], v[80:81], 2.0, -v[112:113]
	v_fma_f64 v[94:95], v[82:83], 2.0, -v[114:115]
	v_add_f64 v[80:81], v[92:93], -v[76:77]
	v_add_f64 v[82:83], v[94:95], -v[78:79]
	v_add_f64 v[76:77], v[112:113], v[90:91]
	v_add_f64 v[78:79], v[114:115], -v[88:89]
	v_fma_f64 v[92:93], v[92:93], 2.0, -v[80:81]
	v_fma_f64 v[94:95], v[94:95], 2.0, -v[82:83]
	;; [unrolled: 1-line block ×4, first 2 shown]
	v_add_f64 v[112:113], v[108:109], -v[244:245]
	v_add_f64 v[114:115], v[110:111], -v[246:247]
	s_waitcnt vmcnt(0)
	ds_write_b128 v28, v[92:95]
	ds_write_b128 v28, v[88:91] offset:16
	ds_write_b128 v28, v[80:83] offset:32
	;; [unrolled: 1-line block ×3, first 2 shown]
	buffer_load_dword v28, off, s[36:39], 0 offset:732 ; 4-byte Folded Reload
	v_fma_f64 v[108:109], v[108:109], 2.0, -v[112:113]
	v_fma_f64 v[110:111], v[110:111], 2.0, -v[114:115]
	v_add_f64 v[244:245], v[112:113], v[118:119]
	v_add_f64 v[246:247], v[114:115], -v[116:117]
	v_add_f64 v[116:117], v[96:97], -v[236:237]
	;; [unrolled: 1-line block ×5, first 2 shown]
	v_fma_f64 v[100:101], v[112:113], 2.0, -v[244:245]
	v_fma_f64 v[102:103], v[114:115], 2.0, -v[246:247]
	v_add_f64 v[112:113], v[200:201], -v[240:241]
	v_add_f64 v[114:115], v[202:203], -v[242:243]
	v_fma_f64 v[96:97], v[96:97], 2.0, -v[116:117]
	v_fma_f64 v[98:99], v[98:99], 2.0, -v[118:119]
	;; [unrolled: 1-line block ×6, first 2 shown]
	v_add_f64 v[236:237], v[108:109], -v[96:97]
	v_add_f64 v[238:239], v[110:111], -v[98:99]
	v_add_f64 v[96:97], v[112:113], v[118:119]
	v_add_f64 v[98:99], v[114:115], -v[116:117]
	v_add_f64 v[116:117], v[64:65], -v[68:69]
	;; [unrolled: 1-line block ×3, first 2 shown]
	v_fma_f64 v[108:109], v[108:109], 2.0, -v[236:237]
	v_fma_f64 v[110:111], v[110:111], 2.0, -v[238:239]
	;; [unrolled: 1-line block ×4, first 2 shown]
	v_add_f64 v[112:113], v[72:73], -v[84:85]
	v_fma_f64 v[64:65], v[64:65], 2.0, -v[116:117]
	v_add_f64 v[114:115], v[74:75], -v[86:87]
	v_fma_f64 v[66:67], v[66:67], 2.0, -v[118:119]
	s_waitcnt vmcnt(0)
	ds_write_b128 v28, v[104:107]
	ds_write_b128 v28, v[100:103] offset:16
	ds_write_b128 v28, v[252:255] offset:32
	;; [unrolled: 1-line block ×3, first 2 shown]
	ds_write_b128 v132, v[108:111]
	ds_write_b128 v132, v[240:243] offset:16
	ds_write_b128 v132, v[236:239] offset:32
	;; [unrolled: 1-line block ×3, first 2 shown]
	buffer_load_dword v28, off, s[36:39], 0 offset:744 ; 4-byte Folded Reload
	v_fma_f64 v[72:73], v[72:73], 2.0, -v[112:113]
	v_fma_f64 v[74:75], v[74:75], 2.0, -v[114:115]
	v_add_f64 v[68:69], v[72:73], -v[64:65]
	v_add_f64 v[64:65], v[112:113], v[118:119]
	v_add_f64 v[70:71], v[74:75], -v[66:67]
	v_add_f64 v[66:67], v[114:115], -v[116:117]
	;; [unrolled: 1-line block ×4, first 2 shown]
	v_fma_f64 v[84:85], v[72:73], 2.0, -v[68:69]
	v_fma_f64 v[72:73], v[112:113], 2.0, -v[64:65]
	v_add_f64 v[112:113], v[16:17], -v[24:25]
	v_add_f64 v[24:25], v[18:19], -v[26:27]
	v_fma_f64 v[86:87], v[74:75], 2.0, -v[70:71]
	v_fma_f64 v[74:75], v[114:115], 2.0, -v[66:67]
	v_fma_f64 v[12:13], v[8:9], 2.0, -v[116:117]
	v_fma_f64 v[14:15], v[10:11], 2.0, -v[118:119]
	v_add_f64 v[114:115], v[118:119], -v[4:5]
	v_add_f64 v[4:5], v[208:209], -v[144:145]
	v_fma_f64 v[16:17], v[16:17], 2.0, -v[112:113]
	v_fma_f64 v[18:19], v[18:19], 2.0, -v[24:25]
	v_add_f64 v[24:25], v[36:37], v[24:25]
	v_add_f64 v[26:27], v[38:39], -v[112:113]
	v_add_f64 v[8:9], v[12:13], -v[0:1]
	;; [unrolled: 1-line block ×3, first 2 shown]
	v_add_f64 v[112:113], v[116:117], v[6:7]
	v_add_f64 v[0:1], v[204:205], -v[232:233]
	v_add_f64 v[2:3], v[206:207], -v[234:235]
	;; [unrolled: 1-line block ×3, first 2 shown]
	v_fma_f64 v[118:119], v[118:119], 2.0, -v[114:115]
	v_add_f64 v[16:17], v[20:21], -v[16:17]
	v_add_f64 v[18:19], v[22:23], -v[18:19]
	v_fma_f64 v[36:37], v[36:37], 2.0, -v[24:25]
	v_fma_f64 v[38:39], v[38:39], 2.0, -v[26:27]
	;; [unrolled: 1-line block ×5, first 2 shown]
	v_add_f64 v[202:203], v[2:3], -v[4:5]
	v_add_f64 v[200:201], v[0:1], v[6:7]
	v_fma_f64 v[20:21], v[20:21], 2.0, -v[16:17]
	v_fma_f64 v[22:23], v[22:23], 2.0, -v[18:19]
	s_waitcnt vmcnt(0)
	ds_write_b128 v28, v[84:87]
	ds_write_b128 v28, v[72:75] offset:16
	ds_write_b128 v28, v[68:71] offset:32
	;; [unrolled: 1-line block ×3, first 2 shown]
	ds_write_b128 v133, v[20:23]
	ds_write_b128 v133, v[36:39] offset:16
	ds_write_b128 v133, v[16:19] offset:32
	;; [unrolled: 1-line block ×3, first 2 shown]
	buffer_load_dword v16, off, s[36:39], 0 offset:756 ; 4-byte Folded Reload
	s_waitcnt vmcnt(0)
	ds_write_b128 v16, v[12:15]
	ds_write_b128 v16, v[116:119] offset:16
	ds_write_b128 v16, v[8:11] offset:32
	;; [unrolled: 1-line block ×3, first 2 shown]
	s_and_saveexec_b32 s1, vcc_lo
	s_cbranch_execz .LBB0_17
; %bb.16:
	v_fma_f64 v[8:9], v[206:207], 2.0, -v[2:3]
	v_fma_f64 v[6:7], v[210:211], 2.0, -v[6:7]
	;; [unrolled: 1-line block ×6, first 2 shown]
	v_add_f64 v[6:7], v[8:9], -v[6:7]
	v_add_f64 v[4:5], v[12:13], -v[4:5]
	v_fma_f64 v[10:11], v[8:9], 2.0, -v[6:7]
	v_fma_f64 v[8:9], v[12:13], 2.0, -v[4:5]
	buffer_load_dword v12, off, s[36:39], 0 offset:720 ; 4-byte Folded Reload
	s_waitcnt vmcnt(0)
	ds_write_b128 v12, v[0:3] offset:16
	ds_write_b128 v12, v[4:7] offset:32
	ds_write_b128 v12, v[8:11]
	ds_write_b128 v12, v[200:203] offset:48
.LBB0_17:
	s_or_b32 exec_lo, exec_lo, s1
	s_waitcnt lgkmcnt(0)
	s_barrier
	buffer_gl0_inv
	ds_read_b128 v[0:3], v212
	ds_read_b128 v[8:11], v212 offset:4480
	ds_read_b128 v[16:19], v212 offset:8960
	ds_read_b128 v[20:23], v212 offset:13440
	ds_read_b128 v[24:27], v212 offset:17920
	ds_read_b128 v[28:31], v212 offset:22400
	ds_read_b128 v[32:35], v212 offset:26880
	ds_read_b128 v[12:15], v212 offset:896
	ds_read_b128 v[36:39], v212 offset:5376
	ds_read_b128 v[40:43], v212 offset:9856
	ds_read_b128 v[44:47], v212 offset:14336
	ds_read_b128 v[48:51], v212 offset:18816
	ds_read_b128 v[52:55], v212 offset:23296
	ds_read_b128 v[56:59], v212 offset:27776
	ds_read_b128 v[232:235], v212 offset:1792
	ds_read_b128 v[64:67], v212 offset:6272
	ds_read_b128 v[68:71], v212 offset:10752
	ds_read_b128 v[72:75], v212 offset:15232
	ds_read_b128 v[76:79], v212 offset:19712
	ds_read_b128 v[80:83], v212 offset:24192
	ds_read_b128 v[84:87], v212 offset:28672
	ds_read_b128 v[208:211], v212 offset:2688
	ds_read_b128 v[88:91], v212 offset:7168
	ds_read_b128 v[92:95], v212 offset:11648
	ds_read_b128 v[96:99], v212 offset:16128
	ds_read_b128 v[100:103], v212 offset:20608
	ds_read_b128 v[104:107], v212 offset:25088
	ds_read_b128 v[118:121], v212 offset:29568
	ds_read_b128 v[204:207], v212 offset:3584
	ds_read_b128 v[122:125], v212 offset:8064
	ds_read_b128 v[126:129], v212 offset:12544
	ds_read_b128 v[160:163], v212 offset:17024
	ds_read_b128 v[164:167], v212 offset:21504
	ds_read_b128 v[168:171], v212 offset:25984
	ds_read_b128 v[4:7], v212 offset:30464
	s_clause 0x17
	buffer_load_dword v144, off, s[36:39], 0 offset:968
	buffer_load_dword v145, off, s[36:39], 0 offset:972
	;; [unrolled: 1-line block ×24, first 2 shown]
	s_mov_b32 s16, 0x37e14327
	s_mov_b32 s4, 0x36b3c0b5
	;; [unrolled: 1-line block ×19, first 2 shown]
	s_waitcnt vmcnt(0) lgkmcnt(0)
	s_barrier
	buffer_gl0_inv
	v_mul_f64 v[60:61], v[146:147], v[10:11]
	v_fma_f64 v[130:131], v[144:145], v[8:9], v[60:61]
	v_mul_f64 v[8:9], v[146:147], v[8:9]
	v_fma_f64 v[132:133], v[144:145], v[10:11], -v[8:9]
	v_mul_f64 v[8:9], v[182:183], v[18:19]
	v_mul_f64 v[10:11], v[178:179], v[20:21]
	v_fma_f64 v[116:117], v[180:181], v[16:17], v[8:9]
	v_mul_f64 v[8:9], v[182:183], v[16:17]
	v_mul_f64 v[16:17], v[174:175], v[26:27]
	v_fma_f64 v[10:11], v[176:177], v[22:23], -v[10:11]
	v_fma_f64 v[134:135], v[180:181], v[18:19], -v[8:9]
	v_fma_f64 v[112:113], v[172:173], v[24:25], v[16:17]
	v_mul_f64 v[16:17], v[174:175], v[24:25]
	v_mul_f64 v[18:19], v[178:179], v[44:45]
	;; [unrolled: 1-line block ×4, first 2 shown]
	v_fma_f64 v[114:115], v[172:173], v[26:27], -v[16:17]
	v_mul_f64 v[16:17], v[154:155], v[30:31]
	v_fma_f64 v[18:19], v[176:177], v[46:47], -v[18:19]
	v_fma_f64 v[8:9], v[176:177], v[20:21], v[8:9]
	v_mul_f64 v[20:21], v[174:175], v[50:51]
	v_fma_f64 v[22:23], v[172:173], v[50:51], -v[22:23]
	v_fma_f64 v[136:137], v[152:153], v[28:29], v[16:17]
	v_mul_f64 v[16:17], v[154:155], v[28:29]
	v_fma_f64 v[20:21], v[172:173], v[48:49], v[20:21]
	v_fma_f64 v[138:139], v[152:153], v[30:31], -v[16:17]
	v_mul_f64 v[16:17], v[150:151], v[34:35]
	v_fma_f64 v[140:141], v[148:149], v[32:33], v[16:17]
	v_mul_f64 v[16:17], v[150:151], v[32:33]
	v_mul_f64 v[32:33], v[154:155], v[54:55]
	v_fma_f64 v[142:143], v[148:149], v[34:35], -v[16:17]
	v_mul_f64 v[16:17], v[146:147], v[38:39]
	v_fma_f64 v[60:61], v[152:153], v[52:53], v[32:33]
	v_mul_f64 v[32:33], v[154:155], v[52:53]
	v_mul_f64 v[34:35], v[178:179], v[160:161]
	v_fma_f64 v[24:25], v[144:145], v[36:37], v[16:17]
	v_mul_f64 v[16:17], v[146:147], v[36:37]
	v_fma_f64 v[62:63], v[152:153], v[54:55], -v[32:33]
	v_mul_f64 v[32:33], v[150:151], v[58:59]
	v_fma_f64 v[34:35], v[176:177], v[162:163], -v[34:35]
	v_fma_f64 v[28:29], v[144:145], v[38:39], -v[16:17]
	v_mul_f64 v[16:17], v[182:183], v[42:43]
	v_fma_f64 v[108:109], v[148:149], v[56:57], v[32:33]
	v_mul_f64 v[32:33], v[150:151], v[56:57]
	v_fma_f64 v[26:27], v[180:181], v[40:41], v[16:17]
	v_mul_f64 v[16:17], v[182:183], v[40:41]
	v_fma_f64 v[110:111], v[148:149], v[58:59], -v[32:33]
	v_mul_f64 v[32:33], v[146:147], v[66:67]
	v_fma_f64 v[30:31], v[180:181], v[42:43], -v[16:17]
	v_mul_f64 v[16:17], v[178:179], v[46:47]
	v_fma_f64 v[40:41], v[144:145], v[64:65], v[32:33]
	v_mul_f64 v[32:33], v[146:147], v[64:65]
	v_fma_f64 v[16:17], v[176:177], v[44:45], v[16:17]
	v_fma_f64 v[44:45], v[144:145], v[66:67], -v[32:33]
	v_mul_f64 v[32:33], v[182:183], v[70:71]
	v_fma_f64 v[42:43], v[180:181], v[68:69], v[32:33]
	v_mul_f64 v[32:33], v[182:183], v[68:69]
	v_fma_f64 v[46:47], v[180:181], v[70:71], -v[32:33]
	v_mul_f64 v[32:33], v[178:179], v[74:75]
	v_fma_f64 v[36:37], v[176:177], v[72:73], v[32:33]
	v_mul_f64 v[32:33], v[178:179], v[72:73]
	;; [unrolled: 4-line block ×4, first 2 shown]
	v_mul_f64 v[80:81], v[174:175], v[166:167]
	v_fma_f64 v[54:55], v[152:153], v[82:83], -v[32:33]
	v_mul_f64 v[32:33], v[150:151], v[86:87]
	v_mul_f64 v[82:83], v[174:175], v[164:165]
	v_fma_f64 v[80:81], v[172:173], v[164:165], v[80:81]
	v_fma_f64 v[56:57], v[148:149], v[84:85], v[32:33]
	v_mul_f64 v[32:33], v[150:151], v[84:85]
	v_fma_f64 v[82:83], v[172:173], v[166:167], -v[82:83]
	v_fma_f64 v[58:59], v[148:149], v[86:87], -v[32:33]
	v_mul_f64 v[32:33], v[146:147], v[90:91]
	v_fma_f64 v[76:77], v[144:145], v[88:89], v[32:33]
	v_mul_f64 v[32:33], v[146:147], v[88:89]
	v_fma_f64 v[78:79], v[144:145], v[90:91], -v[32:33]
	v_mul_f64 v[32:33], v[182:183], v[94:95]
	v_fma_f64 v[72:73], v[180:181], v[92:93], v[32:33]
	v_mul_f64 v[32:33], v[182:183], v[92:93]
	v_mul_f64 v[92:93], v[154:155], v[170:171]
	v_fma_f64 v[74:75], v[180:181], v[94:95], -v[32:33]
	v_mul_f64 v[32:33], v[178:179], v[98:99]
	v_mul_f64 v[94:95], v[154:155], v[168:169]
	v_fma_f64 v[92:93], v[152:153], v[168:169], v[92:93]
	v_fma_f64 v[64:65], v[176:177], v[96:97], v[32:33]
	v_mul_f64 v[32:33], v[178:179], v[96:97]
	v_mul_f64 v[96:97], v[150:151], v[6:7]
	v_fma_f64 v[94:95], v[152:153], v[170:171], -v[94:95]
	v_fma_f64 v[66:67], v[176:177], v[98:99], -v[32:33]
	v_mul_f64 v[32:33], v[174:175], v[102:103]
	v_fma_f64 v[96:97], v[148:149], v[4:5], v[96:97]
	v_mul_f64 v[4:5], v[150:151], v[4:5]
	v_fma_f64 v[68:69], v[172:173], v[100:101], v[32:33]
	v_mul_f64 v[32:33], v[174:175], v[100:101]
	v_fma_f64 v[98:99], v[148:149], v[6:7], -v[4:5]
	v_add_f64 v[4:5], v[130:131], v[140:141]
	v_add_f64 v[6:7], v[132:133], v[142:143]
	v_fma_f64 v[70:71], v[172:173], v[102:103], -v[32:33]
	v_mul_f64 v[32:33], v[154:155], v[106:107]
	v_fma_f64 v[100:101], v[152:153], v[104:105], v[32:33]
	v_mul_f64 v[32:33], v[154:155], v[104:105]
	v_fma_f64 v[102:103], v[152:153], v[106:107], -v[32:33]
	v_mul_f64 v[32:33], v[150:151], v[120:121]
	v_fma_f64 v[104:105], v[148:149], v[118:119], v[32:33]
	v_mul_f64 v[32:33], v[150:151], v[118:119]
	v_add_f64 v[118:119], v[130:131], -v[140:141]
	v_add_f64 v[130:131], v[10:11], v[114:115]
	v_add_f64 v[10:11], v[114:115], -v[10:11]
	v_fma_f64 v[106:107], v[148:149], v[120:121], -v[32:33]
	v_mul_f64 v[32:33], v[146:147], v[124:125]
	v_add_f64 v[120:121], v[132:133], -v[142:143]
	v_fma_f64 v[88:89], v[144:145], v[122:123], v[32:33]
	v_mul_f64 v[32:33], v[146:147], v[122:123]
	v_add_f64 v[122:123], v[116:117], v[136:137]
	v_add_f64 v[116:117], v[116:117], -v[136:137]
	v_fma_f64 v[90:91], v[144:145], v[124:125], -v[32:33]
	v_mul_f64 v[32:33], v[182:183], v[128:129]
	v_add_f64 v[124:125], v[134:135], v[138:139]
	v_add_f64 v[132:133], v[122:123], -v[4:5]
	v_fma_f64 v[84:85], v[180:181], v[126:127], v[32:33]
	v_mul_f64 v[32:33], v[182:183], v[126:127]
	v_add_f64 v[126:127], v[134:135], -v[138:139]
	v_add_f64 v[114:115], v[124:125], v[6:7]
	v_add_f64 v[134:135], v[124:125], -v[6:7]
	v_add_f64 v[6:7], v[6:7], -v[130:131]
	;; [unrolled: 1-line block ×3, first 2 shown]
	v_fma_f64 v[86:87], v[180:181], v[128:129], -v[32:33]
	v_add_f64 v[128:129], v[8:9], v[112:113]
	v_add_f64 v[8:9], v[112:113], -v[8:9]
	v_add_f64 v[112:113], v[122:123], v[4:5]
	v_add_f64 v[138:139], v[10:11], v[126:127]
	v_add_f64 v[142:143], v[10:11], -v[126:127]
	v_add_f64 v[126:127], v[126:127], -v[120:121]
	v_add_f64 v[114:115], v[130:131], v[114:115]
	v_add_f64 v[10:11], v[120:121], -v[10:11]
	v_mul_f64 v[6:7], v[6:7], s[16:17]
	v_mul_f64 v[130:131], v[124:125], s[4:5]
	;; [unrolled: 1-line block ×3, first 2 shown]
	v_add_f64 v[4:5], v[4:5], -v[128:129]
	v_add_f64 v[122:123], v[128:129], -v[122:123]
	v_add_f64 v[136:137], v[8:9], v[116:117]
	v_add_f64 v[140:141], v[8:9], -v[116:117]
	v_add_f64 v[116:117], v[116:117], -v[118:119]
	v_add_f64 v[112:113], v[128:129], v[112:113]
	v_add_f64 v[8:9], v[118:119], -v[8:9]
	v_add_f64 v[120:121], v[138:139], v[120:121]
	v_add_f64 v[2:3], v[2:3], v[114:115]
	v_mul_f64 v[138:139], v[142:143], s[24:25]
	v_mul_f64 v[142:143], v[126:127], s[12:13]
	v_fma_f64 v[124:125], v[124:125], s[4:5], v[6:7]
	v_fma_f64 v[130:131], v[134:135], s[20:21], -v[130:131]
	v_fma_f64 v[6:7], v[134:135], s[22:23], -v[6:7]
	v_fma_f64 v[32:33], v[176:177], v[160:161], v[32:33]
	v_mul_f64 v[4:5], v[4:5], s[16:17]
	v_mul_f64 v[128:129], v[122:123], s[4:5]
	v_add_f64 v[118:119], v[136:137], v[118:119]
	v_mul_f64 v[136:137], v[140:141], s[24:25]
	v_mul_f64 v[140:141], v[116:117], s[12:13]
	v_add_f64 v[0:1], v[0:1], v[112:113]
	v_fma_f64 v[114:115], v[114:115], s[14:15], v[2:3]
	v_fma_f64 v[134:135], v[10:11], s[26:27], v[138:139]
	v_fma_f64 v[10:11], v[10:11], s[28:29], -v[142:143]
	v_fma_f64 v[126:127], v[126:127], s[12:13], -v[138:139]
	v_fma_f64 v[122:123], v[122:123], s[4:5], v[4:5]
	v_fma_f64 v[128:129], v[132:133], s[20:21], -v[128:129]
	v_fma_f64 v[4:5], v[132:133], s[22:23], -v[4:5]
	v_fma_f64 v[132:133], v[8:9], s[26:27], v[136:137]
	v_fma_f64 v[116:117], v[116:117], s[12:13], -v[136:137]
	v_fma_f64 v[112:113], v[112:113], s[14:15], v[0:1]
	v_fma_f64 v[8:9], v[8:9], s[28:29], -v[140:141]
	v_add_f64 v[124:125], v[124:125], v[114:115]
	v_add_f64 v[130:131], v[130:131], v[114:115]
	;; [unrolled: 1-line block ×3, first 2 shown]
	v_fma_f64 v[114:115], v[120:121], s[18:19], v[134:135]
	v_fma_f64 v[126:127], v[120:121], s[18:19], v[126:127]
	v_fma_f64 v[116:117], v[118:119], s[18:19], v[116:117]
	v_add_f64 v[122:123], v[122:123], v[112:113]
	v_add_f64 v[128:129], v[128:129], v[112:113]
	;; [unrolled: 1-line block ×3, first 2 shown]
	v_fma_f64 v[112:113], v[118:119], s[18:19], v[132:133]
	v_fma_f64 v[118:119], v[118:119], s[18:19], v[8:9]
	;; [unrolled: 1-line block ×3, first 2 shown]
	v_add_f64 v[138:139], v[116:117], v[130:131]
	v_add_f64 v[144:145], v[114:115], v[122:123]
	v_add_f64 v[136:137], v[128:129], -v[126:127]
	v_add_f64 v[132:133], v[126:127], v[128:129]
	v_add_f64 v[146:147], v[124:125], -v[112:113]
	v_add_f64 v[142:143], v[6:7], -v[118:119]
	v_add_f64 v[140:141], v[8:9], v[4:5]
	v_add_f64 v[8:9], v[4:5], -v[8:9]
	v_add_f64 v[10:11], v[118:119], v[6:7]
	;; [unrolled: 2-line block ×3, first 2 shown]
	v_add_f64 v[112:113], v[24:25], v[108:109]
	v_add_f64 v[114:115], v[28:29], v[110:111]
	v_add_f64 v[24:25], v[24:25], -v[108:109]
	v_add_f64 v[28:29], v[28:29], -v[110:111]
	v_add_f64 v[108:109], v[26:27], v[60:61]
	v_add_f64 v[110:111], v[30:31], v[62:63]
	v_add_f64 v[26:27], v[26:27], -v[60:61]
	v_add_f64 v[30:31], v[30:31], -v[62:63]
	;; [unrolled: 4-line block ×3, first 2 shown]
	v_add_f64 v[134:135], v[130:131], -v[116:117]
	v_add_f64 v[20:21], v[108:109], v[112:113]
	v_add_f64 v[22:23], v[110:111], v[114:115]
	v_add_f64 v[116:117], v[108:109], -v[112:113]
	v_add_f64 v[118:119], v[110:111], -v[114:115]
	;; [unrolled: 1-line block ×6, first 2 shown]
	v_add_f64 v[120:121], v[16:17], v[26:27]
	v_add_f64 v[122:123], v[18:19], v[30:31]
	v_add_f64 v[124:125], v[16:17], -v[26:27]
	v_add_f64 v[126:127], v[18:19], -v[30:31]
	;; [unrolled: 1-line block ×6, first 2 shown]
	v_add_f64 v[20:21], v[60:61], v[20:21]
	v_add_f64 v[22:23], v[62:63], v[22:23]
	v_mul_f64 v[60:61], v[112:113], s[16:17]
	v_mul_f64 v[62:63], v[114:115], s[16:17]
	;; [unrolled: 1-line block ×4, first 2 shown]
	v_add_f64 v[24:25], v[120:121], v[24:25]
	v_add_f64 v[28:29], v[122:123], v[28:29]
	v_mul_f64 v[120:121], v[124:125], s[24:25]
	v_mul_f64 v[122:123], v[126:127], s[24:25]
	;; [unrolled: 1-line block ×4, first 2 shown]
	v_add_f64 v[12:13], v[12:13], v[20:21]
	v_add_f64 v[14:15], v[14:15], v[22:23]
	v_fma_f64 v[108:109], v[108:109], s[4:5], v[60:61]
	v_fma_f64 v[110:111], v[110:111], s[4:5], v[62:63]
	v_fma_f64 v[112:113], v[116:117], s[20:21], -v[112:113]
	v_fma_f64 v[114:115], v[118:119], s[20:21], -v[114:115]
	;; [unrolled: 1-line block ×4, first 2 shown]
	v_fma_f64 v[116:117], v[16:17], s[26:27], v[120:121]
	v_fma_f64 v[118:119], v[18:19], s[26:27], v[122:123]
	v_fma_f64 v[16:17], v[16:17], s[28:29], -v[124:125]
	v_fma_f64 v[18:19], v[18:19], s[28:29], -v[126:127]
	;; [unrolled: 1-line block ×4, first 2 shown]
	v_fma_f64 v[20:21], v[20:21], s[14:15], v[12:13]
	v_fma_f64 v[22:23], v[22:23], s[14:15], v[14:15]
	;; [unrolled: 1-line block ×5, first 2 shown]
	v_add_f64 v[108:109], v[108:109], v[20:21]
	v_add_f64 v[110:111], v[110:111], v[22:23]
	;; [unrolled: 1-line block ×6, first 2 shown]
	v_fma_f64 v[60:61], v[24:25], s[18:19], v[116:117]
	v_fma_f64 v[62:63], v[28:29], s[18:19], v[118:119]
	;; [unrolled: 1-line block ×3, first 2 shown]
	v_add_f64 v[30:31], v[26:27], v[114:115]
	v_add_f64 v[148:149], v[18:19], v[20:21]
	v_add_f64 v[150:151], v[22:23], -v[16:17]
	v_add_f64 v[154:155], v[110:111], -v[60:61]
	v_add_f64 v[152:153], v[62:63], v[108:109]
	v_add_f64 v[20:21], v[20:21], -v[18:19]
	v_add_f64 v[22:23], v[16:17], v[22:23]
	;; [unrolled: 2-line block ×3, first 2 shown]
	v_add_f64 v[60:61], v[40:41], v[56:57]
	v_add_f64 v[62:63], v[44:45], v[58:59]
	v_add_f64 v[40:41], v[40:41], -v[56:57]
	v_add_f64 v[44:45], v[44:45], -v[58:59]
	v_add_f64 v[56:57], v[42:43], v[52:53]
	v_add_f64 v[58:59], v[46:47], v[54:55]
	v_add_f64 v[42:43], v[42:43], -v[52:53]
	v_add_f64 v[46:47], v[46:47], -v[54:55]
	;; [unrolled: 4-line block ×3, first 2 shown]
	v_add_f64 v[28:29], v[112:113], -v[116:117]
	v_add_f64 v[24:25], v[116:117], v[112:113]
	v_add_f64 v[26:27], v[114:115], -v[26:27]
	v_add_f64 v[48:49], v[56:57], v[60:61]
	v_add_f64 v[50:51], v[58:59], v[62:63]
	v_add_f64 v[108:109], v[56:57], -v[60:61]
	v_add_f64 v[110:111], v[58:59], -v[62:63]
	;; [unrolled: 1-line block ×6, first 2 shown]
	v_add_f64 v[112:113], v[36:37], v[42:43]
	v_add_f64 v[114:115], v[38:39], v[46:47]
	v_add_f64 v[116:117], v[36:37], -v[42:43]
	v_add_f64 v[118:119], v[38:39], -v[46:47]
	;; [unrolled: 1-line block ×6, first 2 shown]
	v_add_f64 v[48:49], v[52:53], v[48:49]
	v_add_f64 v[50:51], v[54:55], v[50:51]
	v_mul_f64 v[52:53], v[60:61], s[16:17]
	v_mul_f64 v[54:55], v[62:63], s[16:17]
	;; [unrolled: 1-line block ×4, first 2 shown]
	v_add_f64 v[40:41], v[112:113], v[40:41]
	v_add_f64 v[44:45], v[114:115], v[44:45]
	v_mul_f64 v[112:113], v[116:117], s[24:25]
	v_mul_f64 v[114:115], v[118:119], s[24:25]
	;; [unrolled: 1-line block ×4, first 2 shown]
	v_add_f64 v[36:37], v[232:233], v[48:49]
	v_add_f64 v[38:39], v[234:235], v[50:51]
	v_fma_f64 v[56:57], v[56:57], s[4:5], v[52:53]
	v_fma_f64 v[58:59], v[58:59], s[4:5], v[54:55]
	v_fma_f64 v[60:61], v[108:109], s[20:21], -v[60:61]
	v_fma_f64 v[62:63], v[110:111], s[20:21], -v[62:63]
	;; [unrolled: 1-line block ×4, first 2 shown]
	v_fma_f64 v[108:109], v[120:121], s[26:27], v[112:113]
	v_fma_f64 v[110:111], v[122:123], s[26:27], v[114:115]
	v_fma_f64 v[42:43], v[42:43], s[12:13], -v[112:113]
	v_fma_f64 v[46:47], v[46:47], s[12:13], -v[114:115]
	;; [unrolled: 1-line block ×4, first 2 shown]
	v_fma_f64 v[48:49], v[48:49], s[14:15], v[36:37]
	v_fma_f64 v[50:51], v[50:51], s[14:15], v[38:39]
	;; [unrolled: 1-line block ×8, first 2 shown]
	v_add_f64 v[116:117], v[56:57], v[48:49]
	v_add_f64 v[118:119], v[58:59], v[50:51]
	;; [unrolled: 1-line block ×7, first 2 shown]
	v_add_f64 v[62:63], v[118:119], -v[108:109]
	v_add_f64 v[52:53], v[120:121], -v[46:47]
	v_add_f64 v[54:55], v[42:43], v[122:123]
	v_add_f64 v[58:59], v[126:127], -v[40:41]
	v_add_f64 v[48:49], v[46:47], v[120:121]
	v_add_f64 v[50:51], v[122:123], -v[42:43]
	v_add_f64 v[46:47], v[40:41], v[126:127]
	v_add_f64 v[40:41], v[116:117], -v[110:111]
	v_add_f64 v[42:43], v[108:109], v[118:119]
	v_add_f64 v[108:109], v[76:77], v[104:105]
	v_add_f64 v[110:111], v[78:79], v[106:107]
	v_add_f64 v[76:77], v[76:77], -v[104:105]
	v_add_f64 v[78:79], v[78:79], -v[106:107]
	v_add_f64 v[104:105], v[72:73], v[100:101]
	v_add_f64 v[106:107], v[74:75], v[102:103]
	v_add_f64 v[72:73], v[72:73], -v[100:101]
	v_add_f64 v[74:75], v[74:75], -v[102:103]
	;; [unrolled: 4-line block ×3, first 2 shown]
	v_add_f64 v[56:57], v[44:45], v[124:125]
	v_add_f64 v[44:45], v[124:125], -v[44:45]
	v_add_f64 v[68:69], v[104:105], v[108:109]
	v_add_f64 v[70:71], v[106:107], v[110:111]
	v_add_f64 v[112:113], v[104:105], -v[108:109]
	v_add_f64 v[114:115], v[106:107], -v[110:111]
	;; [unrolled: 1-line block ×6, first 2 shown]
	v_add_f64 v[116:117], v[64:65], v[72:73]
	v_add_f64 v[118:119], v[66:67], v[74:75]
	v_add_f64 v[120:121], v[64:65], -v[72:73]
	v_add_f64 v[122:123], v[66:67], -v[74:75]
	;; [unrolled: 1-line block ×6, first 2 shown]
	v_add_f64 v[68:69], v[100:101], v[68:69]
	v_add_f64 v[70:71], v[102:103], v[70:71]
	v_mul_f64 v[100:101], v[108:109], s[16:17]
	v_mul_f64 v[102:103], v[110:111], s[16:17]
	;; [unrolled: 1-line block ×4, first 2 shown]
	v_add_f64 v[76:77], v[116:117], v[76:77]
	v_add_f64 v[78:79], v[118:119], v[78:79]
	v_mul_f64 v[116:117], v[120:121], s[24:25]
	v_mul_f64 v[118:119], v[122:123], s[24:25]
	;; [unrolled: 1-line block ×4, first 2 shown]
	v_add_f64 v[64:65], v[208:209], v[68:69]
	v_add_f64 v[66:67], v[210:211], v[70:71]
	v_fma_f64 v[104:105], v[104:105], s[4:5], v[100:101]
	v_fma_f64 v[106:107], v[106:107], s[4:5], v[102:103]
	v_fma_f64 v[108:109], v[112:113], s[20:21], -v[108:109]
	v_fma_f64 v[110:111], v[114:115], s[20:21], -v[110:111]
	;; [unrolled: 1-line block ×4, first 2 shown]
	v_fma_f64 v[112:113], v[124:125], s[26:27], v[116:117]
	v_fma_f64 v[114:115], v[126:127], s[26:27], v[118:119]
	v_fma_f64 v[72:73], v[72:73], s[12:13], -v[116:117]
	v_fma_f64 v[74:75], v[74:75], s[12:13], -v[118:119]
	;; [unrolled: 1-line block ×4, first 2 shown]
	v_fma_f64 v[68:69], v[68:69], s[14:15], v[64:65]
	v_fma_f64 v[70:71], v[70:71], s[14:15], v[66:67]
	v_fma_f64 v[72:73], v[76:77], s[18:19], v[72:73]
	v_fma_f64 v[74:75], v[78:79], s[18:19], v[74:75]
	v_add_f64 v[104:105], v[104:105], v[68:69]
	v_add_f64 v[106:107], v[106:107], v[70:71]
	;; [unrolled: 1-line block ×6, first 2 shown]
	v_fma_f64 v[100:101], v[76:77], s[18:19], v[112:113]
	v_fma_f64 v[102:103], v[78:79], s[18:19], v[114:115]
	;; [unrolled: 1-line block ×4, first 2 shown]
	v_add_f64 v[208:209], v[108:109], -v[74:75]
	v_add_f64 v[210:211], v[72:73], v[110:111]
	v_add_f64 v[76:77], v[74:75], v[108:109]
	v_add_f64 v[78:79], v[110:111], -v[72:73]
	v_add_f64 v[238:239], v[106:107], -v[100:101]
	v_add_f64 v[236:237], v[102:103], v[104:105]
	v_add_f64 v[234:235], v[70:71], -v[112:113]
	v_add_f64 v[232:233], v[114:115], v[68:69]
	;; [unrolled: 2-line block ×4, first 2 shown]
	v_add_f64 v[100:101], v[88:89], v[96:97]
	v_add_f64 v[102:103], v[90:91], v[98:99]
	v_add_f64 v[88:89], v[88:89], -v[96:97]
	v_add_f64 v[90:91], v[90:91], -v[98:99]
	v_add_f64 v[96:97], v[84:85], v[92:93]
	v_add_f64 v[98:99], v[86:87], v[94:95]
	v_add_f64 v[84:85], v[84:85], -v[92:93]
	v_add_f64 v[86:87], v[86:87], -v[94:95]
	;; [unrolled: 4-line block ×4, first 2 shown]
	v_add_f64 v[100:101], v[100:101], -v[92:93]
	v_add_f64 v[102:103], v[102:103], -v[94:95]
	;; [unrolled: 1-line block ×4, first 2 shown]
	v_add_f64 v[108:109], v[32:33], v[84:85]
	v_add_f64 v[110:111], v[34:35], v[86:87]
	v_add_f64 v[112:113], v[32:33], -v[84:85]
	v_add_f64 v[114:115], v[34:35], -v[86:87]
	;; [unrolled: 1-line block ×6, first 2 shown]
	v_add_f64 v[92:93], v[92:93], v[80:81]
	v_add_f64 v[94:95], v[94:95], v[82:83]
	v_mul_f64 v[100:101], v[100:101], s[16:17]
	v_mul_f64 v[102:103], v[102:103], s[16:17]
	v_add_f64 v[88:89], v[108:109], v[88:89]
	v_add_f64 v[90:91], v[110:111], v[90:91]
	v_mul_f64 v[108:109], v[96:97], s[4:5]
	v_mul_f64 v[110:111], v[98:99], s[4:5]
	;; [unrolled: 1-line block ×6, first 2 shown]
	v_add_f64 v[80:81], v[204:205], v[92:93]
	v_add_f64 v[82:83], v[206:207], v[94:95]
	v_fma_f64 v[96:97], v[96:97], s[4:5], v[100:101]
	v_fma_f64 v[98:99], v[98:99], s[4:5], v[102:103]
	v_fma_f64 v[100:101], v[104:105], s[22:23], -v[100:101]
	v_fma_f64 v[102:103], v[106:107], s[22:23], -v[102:103]
	;; [unrolled: 1-line block ×4, first 2 shown]
	v_fma_f64 v[104:105], v[32:33], s[26:27], v[112:113]
	v_fma_f64 v[106:107], v[34:35], s[26:27], v[114:115]
	v_fma_f64 v[34:35], v[34:35], s[28:29], -v[118:119]
	v_fma_f64 v[84:85], v[84:85], s[12:13], -v[112:113]
	;; [unrolled: 1-line block ×4, first 2 shown]
	v_fma_f64 v[92:93], v[92:93], s[14:15], v[80:81]
	v_fma_f64 v[94:95], v[94:95], s[14:15], v[82:83]
	;; [unrolled: 1-line block ×6, first 2 shown]
	v_add_f64 v[100:101], v[100:101], v[92:93]
	v_add_f64 v[114:115], v[98:99], v[94:95]
	;; [unrolled: 1-line block ×5, first 2 shown]
	v_fma_f64 v[108:109], v[88:89], s[18:19], v[84:85]
	v_fma_f64 v[110:111], v[90:91], s[18:19], v[86:87]
	v_add_f64 v[102:103], v[102:103], v[94:95]
	v_add_f64 v[88:89], v[34:35], v[100:101]
	v_add_f64 v[86:87], v[114:115], -v[104:105]
	v_add_f64 v[100:101], v[100:101], -v[34:35]
	v_add_f64 v[34:35], v[104:105], v[114:115]
	buffer_load_dword v104, off, s[36:39], 0 offset:580 ; 4-byte Folded Reload
	v_add_f64 v[84:85], v[106:107], v[112:113]
	v_add_f64 v[92:93], v[96:97], -v[110:111]
	v_add_f64 v[90:91], v[102:103], -v[32:33]
	v_add_f64 v[94:95], v[108:109], v[98:99]
	v_add_f64 v[96:97], v[110:111], v[96:97]
	v_add_f64 v[98:99], v[98:99], -v[108:109]
	v_add_f64 v[102:103], v[32:33], v[102:103]
	v_add_f64 v[32:33], v[112:113], -v[106:107]
	s_waitcnt vmcnt(0)
	ds_write_b128 v104, v[0:3]
	ds_write_b128 v104, v[144:147] offset:64
	ds_write_b128 v104, v[140:143] offset:128
	;; [unrolled: 1-line block ×6, first 2 shown]
	buffer_load_dword v0, off, s[36:39], 0 offset:588 ; 4-byte Folded Reload
	s_waitcnt vmcnt(0)
	ds_write_b128 v0, v[12:15]
	ds_write_b128 v0, v[152:155] offset:64
	ds_write_b128 v0, v[148:151] offset:128
	ds_write_b128 v0, v[28:31] offset:192
	ds_write_b128 v0, v[24:27] offset:256
	ds_write_b128 v0, v[20:23] offset:320
	ds_write_b128 v0, v[16:19] offset:384
	ds_write_b128 v215, v[36:39]
	ds_write_b128 v215, v[60:63] offset:64
	ds_write_b128 v215, v[56:59] offset:128
	ds_write_b128 v215, v[52:55] offset:192
	ds_write_b128 v215, v[48:51] offset:256
	ds_write_b128 v215, v[44:47] offset:320
	ds_write_b128 v215, v[40:43] offset:384
	buffer_load_dword v0, off, s[36:39], 0 offset:584 ; 4-byte Folded Reload
	s_waitcnt vmcnt(0)
	ds_write_b128 v0, v[64:67]
	ds_write_b128 v0, v[236:239] offset:64
	ds_write_b128 v0, v[232:235] offset:128
	;; [unrolled: 1-line block ×6, first 2 shown]
	buffer_load_dword v0, off, s[36:39], 0 offset:576 ; 4-byte Folded Reload
	s_waitcnt vmcnt(0)
	ds_write_b128 v0, v[80:83]
	ds_write_b128 v0, v[84:87] offset:64
	ds_write_b128 v0, v[88:91] offset:128
	;; [unrolled: 1-line block ×6, first 2 shown]
	s_waitcnt lgkmcnt(0)
	s_barrier
	buffer_gl0_inv
	ds_read_b128 v[68:71], v212
	ds_read_b128 v[204:207], v212 offset:15680
	ds_read_b128 v[64:67], v212 offset:896
	;; [unrolled: 1-line block ×33, first 2 shown]
	s_and_saveexec_b32 s1, s0
	s_cbranch_execz .LBB0_19
; %bb.18:
	ds_read_b128 v[32:35], v212 offset:15232
	ds_read_b128 v[200:203], v212 offset:30912
.LBB0_19:
	s_or_b32 exec_lo, exec_lo, s1
	s_clause 0xf
	buffer_load_dword v116, off, s[36:39], 0 offset:936
	buffer_load_dword v117, off, s[36:39], 0 offset:940
	;; [unrolled: 1-line block ×16, first 2 shown]
	s_waitcnt vmcnt(12) lgkmcnt(32)
	v_mul_f64 v[112:113], v[118:119], v[206:207]
	v_mul_f64 v[114:115], v[118:119], v[204:205]
	s_waitcnt vmcnt(8) lgkmcnt(30)
	v_mul_f64 v[118:119], v[122:123], v[152:153]
	v_fma_f64 v[112:113], v[116:117], v[204:205], v[112:113]
	v_fma_f64 v[114:115], v[116:117], v[206:207], -v[114:115]
	v_mul_f64 v[116:117], v[122:123], v[154:155]
	v_fma_f64 v[118:119], v[120:121], v[154:155], -v[118:119]
	s_waitcnt vmcnt(4) lgkmcnt(28)
	v_mul_f64 v[122:123], v[126:127], v[148:149]
	v_fma_f64 v[116:117], v[120:121], v[152:153], v[116:117]
	v_mul_f64 v[120:121], v[126:127], v[150:151]
	v_fma_f64 v[122:123], v[124:125], v[150:151], -v[122:123]
	s_waitcnt vmcnt(0) lgkmcnt(26)
	v_mul_f64 v[126:127], v[130:131], v[144:145]
	v_fma_f64 v[120:121], v[124:125], v[148:149], v[120:121]
	v_mul_f64 v[124:125], v[130:131], v[146:147]
	v_fma_f64 v[126:127], v[128:129], v[146:147], -v[126:127]
	v_fma_f64 v[124:125], v[128:129], v[144:145], v[124:125]
	s_clause 0x3
	buffer_load_dword v144, off, s[36:39], 0 offset:776
	buffer_load_dword v145, off, s[36:39], 0 offset:780
	;; [unrolled: 1-line block ×4, first 2 shown]
	s_waitcnt vmcnt(0) lgkmcnt(24)
	v_mul_f64 v[128:129], v[146:147], v[142:143]
	v_mul_f64 v[130:131], v[146:147], v[140:141]
	v_fma_f64 v[128:129], v[144:145], v[140:141], v[128:129]
	v_fma_f64 v[130:131], v[144:145], v[142:143], -v[130:131]
	s_clause 0x3
	buffer_load_dword v142, off, s[36:39], 0 offset:856
	buffer_load_dword v143, off, s[36:39], 0 offset:860
	buffer_load_dword v144, off, s[36:39], 0 offset:864
	buffer_load_dword v145, off, s[36:39], 0 offset:868
	s_waitcnt vmcnt(0) lgkmcnt(22)
	v_mul_f64 v[140:141], v[144:145], v[138:139]
	v_fma_f64 v[140:141], v[142:143], v[136:137], v[140:141]
	v_mul_f64 v[136:137], v[144:145], v[136:137]
	v_fma_f64 v[136:137], v[142:143], v[138:139], -v[136:137]
	s_clause 0x3
	buffer_load_dword v142, off, s[36:39], 0 offset:824
	buffer_load_dword v143, off, s[36:39], 0 offset:828
	buffer_load_dword v144, off, s[36:39], 0 offset:832
	buffer_load_dword v145, off, s[36:39], 0 offset:836
	s_waitcnt vmcnt(0) lgkmcnt(20)
	v_mul_f64 v[138:139], v[144:145], v[134:135]
	v_fma_f64 v[138:139], v[142:143], v[132:133], v[138:139]
	v_mul_f64 v[132:133], v[144:145], v[132:133]
	;; [unrolled: 10-line block ×4, first 2 shown]
	s_clause 0x3
	buffer_load_dword v144, off, s[36:39], 0 offset:952
	buffer_load_dword v145, off, s[36:39], 0 offset:956
	;; [unrolled: 1-line block ×4, first 2 shown]
	v_fma_f64 v[106:107], v[142:143], v[106:107], -v[104:105]
	v_add_f64 v[106:107], v[38:39], -v[106:107]
	v_fma_f64 v[38:39], v[38:39], 2.0, -v[106:107]
	s_waitcnt vmcnt(0) lgkmcnt(14)
	v_mul_f64 v[104:105], v[146:147], v[102:103]
	v_fma_f64 v[142:143], v[144:145], v[100:101], v[104:105]
	v_mul_f64 v[100:101], v[146:147], v[100:101]
	v_fma_f64 v[144:145], v[144:145], v[102:103], -v[100:101]
	s_clause 0x3
	buffer_load_dword v102, off, s[36:39], 0 offset:920
	buffer_load_dword v103, off, s[36:39], 0 offset:924
	;; [unrolled: 1-line block ×4, first 2 shown]
	s_waitcnt vmcnt(0) lgkmcnt(12)
	v_mul_f64 v[100:101], v[104:105], v[98:99]
	v_fma_f64 v[146:147], v[102:103], v[96:97], v[100:101]
	v_mul_f64 v[96:97], v[104:105], v[96:97]
	v_add_f64 v[104:105], v[36:37], -v[110:111]
	v_add_f64 v[110:111], v[30:31], -v[144:145]
	v_fma_f64 v[148:149], v[102:103], v[98:99], -v[96:97]
	s_clause 0x3
	buffer_load_dword v98, off, s[36:39], 0 offset:808
	buffer_load_dword v99, off, s[36:39], 0 offset:812
	;; [unrolled: 1-line block ×4, first 2 shown]
	v_add_f64 v[102:103], v[42:43], -v[108:109]
	v_fma_f64 v[36:37], v[36:37], 2.0, -v[104:105]
	v_add_f64 v[108:109], v[28:29], -v[142:143]
	v_fma_f64 v[30:31], v[30:31], 2.0, -v[110:111]
	v_fma_f64 v[42:43], v[42:43], 2.0, -v[102:103]
	;; [unrolled: 1-line block ×3, first 2 shown]
	s_waitcnt vmcnt(0) lgkmcnt(10)
	v_mul_f64 v[96:97], v[100:101], v[94:95]
	v_fma_f64 v[150:151], v[98:99], v[92:93], v[96:97]
	v_mul_f64 v[92:93], v[100:101], v[92:93]
	v_add_f64 v[100:101], v[40:41], -v[134:135]
	v_fma_f64 v[152:153], v[98:99], v[94:95], -v[92:93]
	s_clause 0x3
	buffer_load_dword v94, off, s[36:39], 0 offset:792
	buffer_load_dword v95, off, s[36:39], 0 offset:796
	buffer_load_dword v96, off, s[36:39], 0 offset:800
	buffer_load_dword v97, off, s[36:39], 0 offset:804
	v_add_f64 v[98:99], v[46:47], -v[132:133]
	v_fma_f64 v[40:41], v[40:41], 2.0, -v[100:101]
	v_fma_f64 v[46:47], v[46:47], 2.0, -v[98:99]
	s_waitcnt vmcnt(0) lgkmcnt(8)
	v_mul_f64 v[92:93], v[96:97], v[90:91]
	v_fma_f64 v[154:155], v[94:95], v[88:89], v[92:93]
	v_mul_f64 v[88:89], v[96:97], v[88:89]
	v_add_f64 v[96:97], v[44:45], -v[138:139]
	v_fma_f64 v[160:161], v[94:95], v[90:91], -v[88:89]
	s_clause 0x3
	buffer_load_dword v90, off, s[36:39], 0 offset:888
	buffer_load_dword v91, off, s[36:39], 0 offset:892
	buffer_load_dword v92, off, s[36:39], 0 offset:896
	buffer_load_dword v93, off, s[36:39], 0 offset:900
	v_add_f64 v[94:95], v[50:51], -v[136:137]
	v_fma_f64 v[44:45], v[44:45], 2.0, -v[96:97]
	v_fma_f64 v[50:51], v[50:51], 2.0, -v[94:95]
	;; [unrolled: 14-line block ×3, first 2 shown]
	s_waitcnt vmcnt(0) lgkmcnt(4)
	v_mul_f64 v[84:85], v[88:89], v[82:83]
	v_fma_f64 v[166:167], v[86:87], v[80:81], v[84:85]
	v_mul_f64 v[80:81], v[88:89], v[80:81]
	v_add_f64 v[88:89], v[52:53], -v[128:129]
	v_add_f64 v[128:129], v[8:9], -v[166:167]
	v_fma_f64 v[168:169], v[86:87], v[82:83], -v[80:81]
	s_clause 0x3
	buffer_load_dword v82, off, s[36:39], 0 offset:1016
	buffer_load_dword v83, off, s[36:39], 0 offset:1020
	;; [unrolled: 1-line block ×4, first 2 shown]
	v_add_f64 v[86:87], v[58:59], -v[126:127]
	v_fma_f64 v[52:53], v[52:53], 2.0, -v[88:89]
	v_add_f64 v[126:127], v[14:15], -v[164:165]
	v_fma_f64 v[8:9], v[8:9], 2.0, -v[128:129]
	;; [unrolled: 2-line block ×3, first 2 shown]
	v_fma_f64 v[14:15], v[14:15], 2.0, -v[126:127]
	v_fma_f64 v[10:11], v[10:11], 2.0, -v[130:131]
	s_waitcnt vmcnt(0) lgkmcnt(2)
	v_mul_f64 v[80:81], v[84:85], v[78:79]
	v_fma_f64 v[170:171], v[82:83], v[76:77], v[80:81]
	v_mul_f64 v[76:77], v[84:85], v[76:77]
	v_add_f64 v[84:85], v[56:57], -v[124:125]
	v_add_f64 v[124:125], v[12:13], -v[162:163]
	;; [unrolled: 1-line block ×3, first 2 shown]
	v_fma_f64 v[172:173], v[82:83], v[78:79], -v[76:77]
	s_clause 0x3
	buffer_load_dword v78, off, s[36:39], 0 offset:984
	buffer_load_dword v79, off, s[36:39], 0 offset:988
	;; [unrolled: 1-line block ×4, first 2 shown]
	s_waitcnt vmcnt(0) lgkmcnt(0)
	s_barrier
	buffer_gl0_inv
	buffer_load_dword v140, off, s[36:39], 0 offset:12 ; 4-byte Folded Reload
	v_add_f64 v[82:83], v[62:63], -v[122:123]
	v_fma_f64 v[56:57], v[56:57], 2.0, -v[84:85]
	v_add_f64 v[122:123], v[18:19], -v[160:161]
	v_fma_f64 v[12:13], v[12:13], 2.0, -v[124:125]
	v_fma_f64 v[4:5], v[4:5], 2.0, -v[132:133]
	v_add_f64 v[134:135], v[6:7], -v[172:173]
	v_fma_f64 v[62:63], v[62:63], 2.0, -v[82:83]
	v_fma_f64 v[18:19], v[18:19], 2.0, -v[122:123]
	;; [unrolled: 1-line block ×3, first 2 shown]
	v_mul_f64 v[76:77], v[80:81], v[74:75]
	v_fma_f64 v[174:175], v[78:79], v[72:73], v[76:77]
	v_mul_f64 v[72:73], v[80:81], v[72:73]
	v_add_f64 v[76:77], v[64:65], -v[116:117]
	v_add_f64 v[80:81], v[60:61], -v[120:121]
	;; [unrolled: 1-line block ×5, first 2 shown]
	v_fma_f64 v[176:177], v[78:79], v[74:75], -v[72:73]
	v_add_f64 v[72:73], v[68:69], -v[112:113]
	v_add_f64 v[74:75], v[70:71], -v[114:115]
	;; [unrolled: 1-line block ×3, first 2 shown]
	v_fma_f64 v[64:65], v[64:65], 2.0, -v[76:77]
	v_fma_f64 v[60:61], v[60:61], 2.0, -v[80:81]
	v_add_f64 v[112:113], v[24:25], -v[146:147]
	v_add_f64 v[114:115], v[26:27], -v[148:149]
	;; [unrolled: 1-line block ×3, first 2 shown]
	v_fma_f64 v[20:21], v[20:21], 2.0, -v[116:117]
	v_fma_f64 v[16:17], v[16:17], 2.0, -v[120:121]
	;; [unrolled: 1-line block ×3, first 2 shown]
	v_add_f64 v[138:139], v[2:3], -v[176:177]
	v_fma_f64 v[68:69], v[68:69], 2.0, -v[72:73]
	v_fma_f64 v[70:71], v[70:71], 2.0, -v[74:75]
	s_waitcnt vmcnt(0)
	ds_write_b128 v140, v[68:71]
	ds_write_b128 v140, v[72:75] offset:448
	buffer_load_dword v68, off, s[36:39], 0 offset:724 ; 4-byte Folded Reload
	v_fma_f64 v[66:67], v[66:67], 2.0, -v[78:79]
	v_fma_f64 v[24:25], v[24:25], 2.0, -v[112:113]
	;; [unrolled: 1-line block ×5, first 2 shown]
	s_waitcnt vmcnt(0)
	ds_write_b128 v68, v[64:67]
	ds_write_b128 v68, v[76:79] offset:448
	buffer_load_dword v64, off, s[36:39], 0 offset:772 ; 4-byte Folded Reload
	s_waitcnt vmcnt(0)
	ds_write_b128 v64, v[60:63]
	ds_write_b128 v64, v[80:83] offset:448
	buffer_load_dword v60, off, s[36:39], 0 offset:768 ; 4-byte Folded Reload
	;; [unrolled: 4-line block ×15, first 2 shown]
	s_waitcnt vmcnt(0)
	ds_write_b128 v4, v[0:3]
	ds_write_b128 v4, v[136:139] offset:448
	s_and_saveexec_b32 s1, s0
	s_cbranch_execz .LBB0_21
; %bb.20:
	s_clause 0x4
	buffer_load_dword v4, off, s[36:39], 0 offset:1836
	buffer_load_dword v5, off, s[36:39], 0 offset:1840
	;; [unrolled: 1-line block ×5, first 2 shown]
	v_mov_b32_e32 v8, 4
	s_waitcnt vmcnt(1)
	v_mul_f64 v[0:1], v[6:7], v[200:201]
	v_mul_f64 v[2:3], v[6:7], v[202:203]
	s_waitcnt vmcnt(0)
	v_lshlrev_b32_sdwa v8, v8, v9 dst_sel:DWORD dst_unused:UNUSED_PAD src0_sel:DWORD src1_sel:WORD_0
	v_fma_f64 v[0:1], v[4:5], v[202:203], -v[0:1]
	v_fma_f64 v[4:5], v[4:5], v[200:201], v[2:3]
	v_add_f64 v[2:3], v[34:35], -v[0:1]
	v_add_f64 v[0:1], v[32:33], -v[4:5]
	v_fma_f64 v[6:7], v[34:35], 2.0, -v[2:3]
	v_fma_f64 v[4:5], v[32:33], 2.0, -v[0:1]
	ds_write_b128 v8, v[4:7] offset:30464
	ds_write_b128 v8, v[0:3] offset:30912
.LBB0_21:
	s_or_b32 exec_lo, exec_lo, s1
	s_waitcnt lgkmcnt(0)
	s_barrier
	buffer_gl0_inv
	ds_read_b128 v[0:3], v212 offset:4480
	s_mov_b32 s0, 0x36b3c0b5
	s_mov_b32 s14, 0xe976ee23
	;; [unrolled: 1-line block ×16, first 2 shown]
	s_waitcnt lgkmcnt(0)
	v_mul_f64 v[4:5], v[250:251], v[2:3]
	v_fma_f64 v[4:5], v[248:249], v[0:1], v[4:5]
	v_mul_f64 v[0:1], v[250:251], v[0:1]
	v_fma_f64 v[6:7], v[248:249], v[2:3], -v[0:1]
	ds_read_b128 v[0:3], v212 offset:5376
	s_waitcnt lgkmcnt(0)
	v_mul_f64 v[8:9], v[250:251], v[2:3]
	v_fma_f64 v[32:33], v[248:249], v[0:1], v[8:9]
	v_mul_f64 v[0:1], v[250:251], v[0:1]
	v_fma_f64 v[34:35], v[248:249], v[2:3], -v[0:1]
	ds_read_b128 v[0:3], v212 offset:8960
	;; [unrolled: 6-line block ×6, first 2 shown]
	s_clause 0x3
	buffer_load_dword v22, off, s[36:39], 0 offset:1048
	buffer_load_dword v23, off, s[36:39], 0 offset:1052
	buffer_load_dword v24, off, s[36:39], 0 offset:1056
	buffer_load_dword v25, off, s[36:39], 0 offset:1060
	s_waitcnt vmcnt(0) lgkmcnt(0)
	v_mul_f64 v[16:17], v[24:25], v[2:3]
	v_fma_f64 v[16:17], v[22:23], v[0:1], v[16:17]
	v_mul_f64 v[0:1], v[24:25], v[0:1]
	v_fma_f64 v[18:19], v[22:23], v[2:3], -v[0:1]
	ds_read_b128 v[0:3], v212 offset:18816
	s_waitcnt lgkmcnt(0)
	v_mul_f64 v[20:21], v[24:25], v[2:3]
	v_add_f64 v[132:133], v[14:15], v[18:19]
	v_add_f64 v[14:15], v[18:19], -v[14:15]
	v_fma_f64 v[44:45], v[22:23], v[0:1], v[20:21]
	v_mul_f64 v[0:1], v[24:25], v[0:1]
	v_fma_f64 v[46:47], v[22:23], v[2:3], -v[0:1]
	ds_read_b128 v[0:3], v212 offset:22400
	s_waitcnt lgkmcnt(0)
	v_mul_f64 v[20:21], v[230:231], v[2:3]
	v_fma_f64 v[20:21], v[228:229], v[0:1], v[20:21]
	v_mul_f64 v[0:1], v[230:231], v[0:1]
	v_add_f64 v[30:31], v[8:9], v[20:21]
	v_fma_f64 v[22:23], v[228:229], v[2:3], -v[0:1]
	ds_read_b128 v[0:3], v212 offset:23296
	s_waitcnt lgkmcnt(0)
	v_mul_f64 v[24:25], v[230:231], v[2:3]
	v_add_f64 v[130:131], v[10:11], v[22:23]
	v_add_f64 v[10:11], v[10:11], -v[22:23]
	v_fma_f64 v[48:49], v[228:229], v[0:1], v[24:25]
	v_mul_f64 v[0:1], v[230:231], v[0:1]
	v_fma_f64 v[50:51], v[228:229], v[2:3], -v[0:1]
	ds_read_b128 v[0:3], v212 offset:26880
	s_waitcnt lgkmcnt(0)
	v_mul_f64 v[24:25], v[226:227], v[2:3]
	v_fma_f64 v[24:25], v[224:225], v[0:1], v[24:25]
	v_mul_f64 v[0:1], v[226:227], v[0:1]
	v_add_f64 v[18:19], v[4:5], -v[24:25]
	v_fma_f64 v[26:27], v[224:225], v[2:3], -v[0:1]
	ds_read_b128 v[0:3], v212 offset:27776
	s_waitcnt lgkmcnt(0)
	v_mul_f64 v[28:29], v[226:227], v[2:3]
	v_add_f64 v[128:129], v[6:7], v[26:27]
	v_add_f64 v[22:23], v[6:7], -v[26:27]
	v_add_f64 v[6:7], v[14:15], -v[10:11]
	;; [unrolled: 1-line block ×3, first 2 shown]
	v_fma_f64 v[52:53], v[224:225], v[0:1], v[28:29]
	v_mul_f64 v[0:1], v[226:227], v[0:1]
	v_fma_f64 v[54:55], v[224:225], v[2:3], -v[0:1]
	ds_read_b128 v[0:3], v212 offset:6272
	s_clause 0x3
	buffer_load_dword v56, off, s[36:39], 0 offset:1176
	buffer_load_dword v57, off, s[36:39], 0 offset:1180
	buffer_load_dword v58, off, s[36:39], 0 offset:1184
	buffer_load_dword v59, off, s[36:39], 0 offset:1188
	s_waitcnt vmcnt(0) lgkmcnt(0)
	v_mul_f64 v[28:29], v[58:59], v[2:3]
	v_fma_f64 v[60:61], v[56:57], v[0:1], v[28:29]
	v_mul_f64 v[0:1], v[58:59], v[0:1]
	v_fma_f64 v[62:63], v[56:57], v[2:3], -v[0:1]
	ds_read_b128 v[0:3], v212 offset:10752
	s_clause 0x3
	buffer_load_dword v56, off, s[36:39], 0 offset:1128
	buffer_load_dword v57, off, s[36:39], 0 offset:1132
	buffer_load_dword v58, off, s[36:39], 0 offset:1136
	buffer_load_dword v59, off, s[36:39], 0 offset:1140
	s_waitcnt vmcnt(0) lgkmcnt(0)
	v_mul_f64 v[28:29], v[58:59], v[2:3]
	;; [unrolled: 11-line block ×18, first 2 shown]
	v_fma_f64 v[88:89], v[56:57], v[0:1], v[28:29]
	v_mul_f64 v[0:1], v[58:59], v[0:1]
	v_add_f64 v[28:29], v[4:5], v[24:25]
	v_add_f64 v[4:5], v[8:9], -v[20:21]
	v_add_f64 v[20:21], v[130:131], -v[128:129]
	v_add_f64 v[8:9], v[14:15], v[10:11]
	v_fma_f64 v[90:91], v[56:57], v[2:3], -v[0:1]
	v_add_f64 v[56:57], v[12:13], v[16:17]
	v_add_f64 v[0:1], v[30:31], v[28:29]
	v_add_f64 v[12:13], v[16:17], -v[12:13]
	v_add_f64 v[16:17], v[30:31], -v[28:29]
	;; [unrolled: 1-line block ×3, first 2 shown]
	v_add_f64 v[142:143], v[8:9], v[22:23]
	v_add_f64 v[24:25], v[56:57], -v[30:31]
	v_add_f64 v[58:59], v[56:57], v[0:1]
	v_add_f64 v[0:1], v[130:131], v[128:129]
	v_add_f64 v[30:31], v[10:11], -v[22:23]
	v_add_f64 v[136:137], v[12:13], v[4:5]
	v_add_f64 v[28:29], v[28:29], -v[56:57]
	v_mul_f64 v[130:131], v[6:7], s[14:15]
	v_add_f64 v[138:139], v[12:13], -v[4:5]
	v_add_f64 v[56:57], v[128:129], -v[132:133]
	;; [unrolled: 1-line block ×3, first 2 shown]
	v_mul_f64 v[10:11], v[26:27], s[0:1]
	v_mul_f64 v[14:15], v[140:141], s[12:13]
	v_mul_f64 v[6:7], v[24:25], s[0:1]
	v_add_f64 v[134:135], v[132:133], v[0:1]
	ds_read_b128 v[0:3], v212
	v_add_f64 v[136:137], v[136:137], v[18:19]
	v_add_f64 v[18:19], v[18:19], -v[12:13]
	v_mul_f64 v[28:29], v[28:29], s[22:23]
	v_mul_f64 v[12:13], v[30:31], s[12:13]
	;; [unrolled: 1-line block ×4, first 2 shown]
	v_fma_f64 v[10:11], v[20:21], s[20:21], -v[10:11]
	v_fma_f64 v[8:9], v[30:31], s[12:13], -v[130:131]
	v_add_f64 v[132:133], v[34:35], v[54:55]
	v_fma_f64 v[6:7], v[16:17], s[20:21], -v[6:7]
	s_waitcnt lgkmcnt(0)
	v_add_f64 v[0:1], v[0:1], v[58:59]
	v_add_f64 v[2:3], v[2:3], v[134:135]
	v_fma_f64 v[14:15], v[18:19], s[26:27], -v[14:15]
	v_fma_f64 v[16:17], v[16:17], s[24:25], -v[28:29]
	;; [unrolled: 1-line block ×4, first 2 shown]
	v_fma_f64 v[18:19], v[18:19], s[16:17], v[138:139]
	v_fma_f64 v[144:145], v[142:143], s[4:5], v[8:9]
	v_fma_f64 v[8:9], v[140:141], s[12:13], -v[138:139]
	v_fma_f64 v[58:59], v[58:59], s[18:19], v[0:1]
	v_fma_f64 v[134:135], v[134:135], s[18:19], v[2:3]
	;; [unrolled: 1-line block ×6, first 2 shown]
	v_add_f64 v[136:137], v[42:43], v[46:47]
	v_add_f64 v[42:43], v[46:47], -v[42:43]
	v_add_f64 v[46:47], v[32:33], -v[52:53]
	v_add_f64 v[16:17], v[16:17], v[58:59]
	v_add_f64 v[30:31], v[20:21], v[134:135]
	;; [unrolled: 1-line block ×5, first 2 shown]
	v_add_f64 v[12:13], v[16:17], -v[12:13]
	v_fma_f64 v[16:17], v[24:25], s[0:1], v[28:29]
	v_fma_f64 v[24:25], v[26:27], s[0:1], v[56:57]
	v_add_f64 v[56:57], v[32:33], v[52:53]
	v_add_f64 v[22:23], v[30:31], -v[14:15]
	v_add_f64 v[14:15], v[14:15], v[30:31]
	v_fma_f64 v[26:27], v[128:129], s[16:17], v[130:131]
	v_add_f64 v[128:129], v[40:41], v[44:45]
	v_add_f64 v[32:33], v[36:37], -v[48:49]
	v_add_f64 v[40:41], v[44:45], -v[40:41]
	;; [unrolled: 1-line block ×3, first 2 shown]
	v_add_f64 v[4:5], v[144:145], v[4:5]
	v_add_f64 v[10:11], v[146:147], v[6:7]
	v_add_f64 v[6:7], v[6:7], -v[146:147]
	v_add_f64 v[16:17], v[16:17], v[58:59]
	v_add_f64 v[24:25], v[24:25], v[134:135]
	;; [unrolled: 1-line block ×4, first 2 shown]
	v_add_f64 v[38:39], v[38:39], -v[50:51]
	v_add_f64 v[50:51], v[34:35], -v[54:55]
	v_fma_f64 v[26:27], v[142:143], s[4:5], v[26:27]
	v_add_f64 v[144:145], v[32:33], -v[46:47]
	v_add_f64 v[140:141], v[40:41], v[32:33]
	v_add_f64 v[142:143], v[40:41], -v[32:33]
	v_add_f64 v[30:31], v[24:25], -v[18:19]
	v_add_f64 v[18:19], v[18:19], v[24:25]
	v_add_f64 v[24:25], v[58:59], v[56:57]
	v_add_f64 v[44:45], v[58:59], -v[56:57]
	v_add_f64 v[52:53], v[128:129], -v[58:59]
	;; [unrolled: 1-line block ×5, first 2 shown]
	v_add_f64 v[28:29], v[26:27], v[16:17]
	v_add_f64 v[16:17], v[16:17], -v[26:27]
	v_add_f64 v[48:49], v[134:135], -v[132:133]
	;; [unrolled: 1-line block ×3, first 2 shown]
	v_add_f64 v[36:37], v[42:43], v[38:39]
	v_add_f64 v[140:141], v[140:141], v[46:47]
	v_add_f64 v[46:47], v[46:47], -v[40:41]
	v_mul_f64 v[142:143], v[142:143], s[14:15]
	v_add_f64 v[130:131], v[128:129], v[24:25]
	v_add_f64 v[24:25], v[134:135], v[132:133]
	v_add_f64 v[128:129], v[132:133], -v[136:137]
	v_mul_f64 v[134:135], v[34:35], s[14:15]
	v_mul_f64 v[34:35], v[52:53], s[0:1]
	v_add_f64 v[132:133], v[50:51], -v[42:43]
	v_mul_f64 v[56:57], v[56:57], s[22:23]
	v_mul_f64 v[40:41], v[58:59], s[12:13]
	;; [unrolled: 1-line block ×4, first 2 shown]
	v_add_f64 v[146:147], v[36:37], v[50:51]
	v_add_f64 v[138:139], v[136:137], v[24:25]
	ds_read_b128 v[24:27], v212 offset:896
	v_mul_f64 v[128:129], v[128:129], s[22:23]
	v_fma_f64 v[34:35], v[44:45], s[20:21], -v[34:35]
	v_fma_f64 v[36:37], v[58:59], s[12:13], -v[134:135]
	;; [unrolled: 1-line block ×6, first 2 shown]
	v_fma_f64 v[46:47], v[46:47], s[16:17], v[142:143]
	v_add_f64 v[136:137], v[112:113], v[116:117]
	s_waitcnt lgkmcnt(0)
	v_add_f64 v[24:25], v[24:25], v[130:131]
	v_add_f64 v[26:27], v[26:27], v[138:139]
	v_fma_f64 v[48:49], v[48:49], s[24:25], -v[128:129]
	v_fma_f64 v[148:149], v[146:147], s[4:5], v[36:37]
	v_fma_f64 v[36:37], v[144:145], s[12:13], -v[142:143]
	v_fma_f64 v[40:41], v[146:147], s[4:5], v[40:41]
	v_fma_f64 v[42:43], v[140:141], s[4:5], v[42:43]
	;; [unrolled: 1-line block ×6, first 2 shown]
	v_add_f64 v[140:141], v[114:115], v[118:119]
	v_add_f64 v[114:115], v[118:119], -v[114:115]
	v_add_f64 v[118:119], v[60:61], -v[124:125]
	v_add_f64 v[44:45], v[44:45], v[130:131]
	v_add_f64 v[58:59], v[48:49], v[138:139]
	v_add_f64 v[32:33], v[34:35], v[130:131]
	v_add_f64 v[34:35], v[38:39], v[138:139]
	v_add_f64 v[48:49], v[40:41], v[44:45]
	v_add_f64 v[40:41], v[44:45], -v[40:41]
	v_fma_f64 v[44:45], v[52:53], s[0:1], v[56:57]
	v_fma_f64 v[52:53], v[54:55], s[0:1], v[128:129]
	v_add_f64 v[128:129], v[60:61], v[124:125]
	v_add_f64 v[50:51], v[58:59], -v[42:43]
	v_add_f64 v[42:43], v[42:43], v[58:59]
	v_fma_f64 v[54:55], v[132:133], s[16:17], v[134:135]
	v_add_f64 v[134:135], v[66:67], v[122:123]
	v_add_f64 v[66:67], v[66:67], -v[122:123]
	v_add_f64 v[122:123], v[62:63], -v[126:127]
	;; [unrolled: 1-line block ×4, first 2 shown]
	v_add_f64 v[32:33], v[148:149], v[32:33]
	v_add_f64 v[38:39], v[150:151], v[34:35]
	v_add_f64 v[34:35], v[34:35], -v[150:151]
	v_add_f64 v[44:45], v[44:45], v[130:131]
	v_add_f64 v[52:53], v[52:53], v[138:139]
	;; [unrolled: 1-line block ×4, first 2 shown]
	v_add_f64 v[64:65], v[116:117], -v[112:113]
	v_fma_f64 v[54:55], v[146:147], s[4:5], v[54:55]
	v_add_f64 v[124:125], v[140:141], -v[134:135]
	v_add_f64 v[62:63], v[114:115], -v[66:67]
	v_add_f64 v[126:127], v[114:115], v[66:67]
	v_add_f64 v[66:67], v[66:67], -v[122:123]
	v_add_f64 v[146:147], v[60:61], -v[118:119]
	;; [unrolled: 1-line block ×4, first 2 shown]
	v_add_f64 v[46:47], v[46:47], v[52:53]
	v_add_f64 v[52:53], v[130:131], v[128:129]
	v_add_f64 v[116:117], v[136:137], -v[130:131]
	v_add_f64 v[56:57], v[54:55], v[44:45]
	v_add_f64 v[44:45], v[44:45], -v[54:55]
	v_add_f64 v[112:113], v[130:131], -v[128:129]
	;; [unrolled: 1-line block ×3, first 2 shown]
	v_mul_f64 v[130:131], v[62:63], s[14:15]
	v_add_f64 v[128:129], v[128:129], -v[136:137]
	v_add_f64 v[144:145], v[64:65], -v[60:61]
	v_add_f64 v[126:127], v[126:127], v[122:123]
	v_add_f64 v[132:133], v[136:137], v[52:53]
	v_add_f64 v[52:53], v[134:135], v[138:139]
	v_mul_f64 v[62:63], v[116:117], s[0:1]
	v_add_f64 v[134:135], v[64:65], v[60:61]
	v_add_f64 v[64:65], v[118:119], -v[64:65]
	v_add_f64 v[136:137], v[138:139], -v[140:141]
	v_mul_f64 v[160:161], v[144:145], s[14:15]
	v_add_f64 v[142:143], v[140:141], v[52:53]
	ds_read_b128 v[52:55], v212 offset:1792
	v_fma_f64 v[62:63], v[112:113], s[20:21], -v[62:63]
	v_add_f64 v[150:151], v[134:135], v[118:119]
	v_mul_f64 v[118:119], v[128:129], s[22:23]
	v_mul_f64 v[122:123], v[136:137], s[22:23]
	;; [unrolled: 1-line block ×3, first 2 shown]
	s_waitcnt lgkmcnt(0)
	v_add_f64 v[52:53], v[52:53], v[132:133]
	v_add_f64 v[54:55], v[54:55], v[142:143]
	v_fma_f64 v[112:113], v[112:113], s[24:25], -v[118:119]
	v_fma_f64 v[128:129], v[64:65], s[26:27], -v[128:129]
	v_fma_f64 v[64:65], v[64:65], s[16:17], v[160:161]
	v_fma_f64 v[148:149], v[132:133], s[18:19], v[52:53]
	v_mul_f64 v[132:133], v[124:125], s[0:1]
	v_fma_f64 v[142:143], v[142:143], s[18:19], v[54:55]
	v_fma_f64 v[128:129], v[150:151], s[4:5], v[128:129]
	;; [unrolled: 1-line block ×3, first 2 shown]
	v_add_f64 v[60:61], v[62:63], v[148:149]
	v_fma_f64 v[132:133], v[120:121], s[20:21], -v[132:133]
	v_add_f64 v[112:113], v[112:113], v[148:149]
	v_fma_f64 v[120:121], v[120:121], s[24:25], -v[122:123]
	v_add_f64 v[62:63], v[132:133], v[142:143]
	v_fma_f64 v[132:133], v[66:67], s[12:13], -v[130:131]
	v_mul_f64 v[66:67], v[66:67], s[12:13]
	v_add_f64 v[120:121], v[120:121], v[142:143]
	v_fma_f64 v[144:145], v[126:127], s[4:5], v[132:133]
	v_fma_f64 v[66:67], v[114:115], s[26:27], -v[66:67]
	v_fma_f64 v[132:133], v[146:147], s[12:13], -v[160:161]
	v_fma_f64 v[114:115], v[114:115], s[16:17], v[130:131]
	v_add_f64 v[146:147], v[120:121], -v[128:129]
	v_add_f64 v[138:139], v[128:129], v[120:121]
	v_fma_f64 v[66:67], v[126:127], s[4:5], v[66:67]
	v_fma_f64 v[162:163], v[150:151], s[4:5], v[132:133]
	v_add_f64 v[132:133], v[60:61], -v[144:145]
	v_add_f64 v[60:61], v[144:145], v[60:61]
	v_fma_f64 v[114:115], v[126:127], s[4:5], v[114:115]
	v_add_f64 v[144:145], v[66:67], v[112:113]
	v_add_f64 v[136:137], v[112:113], -v[66:67]
	v_fma_f64 v[66:67], v[116:117], s[0:1], v[118:119]
	v_fma_f64 v[112:113], v[124:125], s[0:1], v[122:123]
	v_add_f64 v[134:135], v[162:163], v[62:63]
	v_add_f64 v[62:63], v[62:63], -v[162:163]
	v_add_f64 v[66:67], v[66:67], v[148:149]
	v_add_f64 v[112:113], v[112:113], v[142:143]
	;; [unrolled: 1-line block ×3, first 2 shown]
	v_add_f64 v[150:151], v[112:113], -v[64:65]
	v_add_f64 v[140:141], v[66:67], -v[114:115]
	v_add_f64 v[142:143], v[64:65], v[112:113]
	ds_read_b128 v[64:67], v212 offset:3584
	ds_read_b128 v[112:115], v212 offset:2688
	s_waitcnt lgkmcnt(0)
	s_barrier
	buffer_gl0_inv
	ds_write_b128 v212, v[0:3]
	ds_write_b128 v212, v[28:31] offset:896
	ds_write_b128 v212, v[20:23] offset:1792
	;; [unrolled: 1-line block ×20, first 2 shown]
	v_add_f64 v[12:13], v[92:93], v[152:153]
	v_add_f64 v[4:5], v[96:97], v[108:109]
	;; [unrolled: 1-line block ×6, first 2 shown]
	v_add_f64 v[20:21], v[100:101], -v[110:111]
	v_add_f64 v[22:23], v[106:107], -v[104:105]
	;; [unrolled: 1-line block ×6, first 2 shown]
	v_add_f64 v[0:1], v[4:5], v[12:13]
	v_add_f64 v[32:33], v[4:5], -v[12:13]
	v_add_f64 v[34:35], v[14:15], -v[4:5]
	;; [unrolled: 1-line block ×7, first 2 shown]
	v_add_f64 v[6:7], v[14:15], v[0:1]
	v_add_f64 v[0:1], v[8:9], v[16:17]
	;; [unrolled: 1-line block ×3, first 2 shown]
	v_add_f64 v[20:21], v[20:21], -v[26:27]
	v_add_f64 v[14:15], v[16:17], -v[18:19]
	;; [unrolled: 1-line block ×3, first 2 shown]
	v_mul_f64 v[40:41], v[4:5], s[14:15]
	v_mul_f64 v[4:5], v[34:35], s[0:1]
	;; [unrolled: 1-line block ×3, first 2 shown]
	v_add_f64 v[10:11], v[18:19], v[0:1]
	v_add_f64 v[0:1], v[112:113], v[6:7]
	;; [unrolled: 1-line block ×3, first 2 shown]
	v_mul_f64 v[26:27], v[12:13], s[22:23]
	v_mul_f64 v[12:13], v[20:21], s[12:13]
	v_fma_f64 v[4:5], v[32:33], s[20:21], -v[4:5]
	v_add_f64 v[2:3], v[114:115], v[10:11]
	v_fma_f64 v[42:43], v[6:7], s[18:19], v[0:1]
	v_mul_f64 v[6:7], v[38:39], s[0:1]
	v_fma_f64 v[16:17], v[32:33], s[24:25], -v[26:27]
	v_fma_f64 v[12:13], v[22:23], s[26:27], -v[12:13]
	v_fma_f64 v[22:23], v[22:23], s[16:17], v[40:41]
	v_fma_f64 v[44:45], v[10:11], s[18:19], v[2:3]
	v_add_f64 v[10:11], v[30:31], v[28:29]
	v_add_f64 v[28:29], v[28:29], -v[24:25]
	v_add_f64 v[8:9], v[4:5], v[42:43]
	v_fma_f64 v[4:5], v[20:21], s[12:13], -v[40:41]
	v_add_f64 v[16:17], v[16:17], v[42:43]
	v_fma_f64 v[20:21], v[50:51], s[4:5], v[12:13]
	v_fma_f64 v[6:7], v[36:37], s[20:21], -v[6:7]
	v_add_f64 v[48:49], v[10:11], v[24:25]
	v_add_f64 v[24:25], v[24:25], -v[30:31]
	v_mul_f64 v[30:31], v[14:15], s[22:23]
	v_mul_f64 v[14:15], v[28:29], s[12:13]
	v_fma_f64 v[52:53], v[50:51], s[4:5], v[4:5]
	v_fma_f64 v[4:5], v[28:29], s[12:13], -v[46:47]
	v_add_f64 v[12:13], v[20:21], v[16:17]
	v_add_f64 v[16:17], v[16:17], -v[20:21]
	v_fma_f64 v[20:21], v[34:35], s[0:1], v[26:27]
	v_add_f64 v[10:11], v[6:7], v[44:45]
	v_fma_f64 v[18:19], v[36:37], s[24:25], -v[30:31]
	v_fma_f64 v[14:15], v[24:25], s[26:27], -v[14:15]
	v_fma_f64 v[26:27], v[38:39], s[0:1], v[30:31]
	v_fma_f64 v[24:25], v[24:25], s[16:17], v[46:47]
	v_fma_f64 v[30:31], v[50:51], s[4:5], v[22:23]
	v_fma_f64 v[54:55], v[48:49], s[4:5], v[4:5]
	v_add_f64 v[4:5], v[8:9], -v[52:53]
	v_add_f64 v[8:9], v[52:53], v[8:9]
	v_add_f64 v[18:19], v[18:19], v[44:45]
	v_fma_f64 v[28:29], v[48:49], s[4:5], v[14:15]
	v_add_f64 v[26:27], v[26:27], v[44:45]
	v_fma_f64 v[32:33], v[48:49], s[4:5], v[24:25]
	v_add_f64 v[6:7], v[54:55], v[10:11]
	v_add_f64 v[10:11], v[10:11], -v[54:55]
	v_add_f64 v[14:15], v[18:19], -v[28:29]
	v_add_f64 v[18:19], v[28:29], v[18:19]
	v_add_f64 v[28:29], v[20:21], v[42:43]
	v_add_f64 v[22:23], v[26:27], -v[32:33]
	v_add_f64 v[26:27], v[32:33], v[26:27]
	v_add_f64 v[20:21], v[30:31], v[28:29]
	v_add_f64 v[24:25], v[28:29], -v[30:31]
	ds_write_b128 v199, v[0:3] offset:18816
	ds_write_b128 v199, v[20:23] offset:19712
	;; [unrolled: 1-line block ×7, first 2 shown]
	v_add_f64 v[12:13], v[68:69], v[88:89]
	v_add_f64 v[4:5], v[72:73], v[84:85]
	;; [unrolled: 1-line block ×6, first 2 shown]
	v_add_f64 v[20:21], v[76:77], -v[86:87]
	v_add_f64 v[22:23], v[82:83], -v[80:81]
	;; [unrolled: 1-line block ×6, first 2 shown]
	v_add_f64 v[0:1], v[4:5], v[12:13]
	v_add_f64 v[32:33], v[4:5], -v[12:13]
	v_add_f64 v[34:35], v[14:15], -v[4:5]
	v_add_f64 v[36:37], v[8:9], -v[16:17]
	v_add_f64 v[38:39], v[18:19], -v[8:9]
	v_add_f64 v[12:13], v[12:13], -v[14:15]
	v_add_f64 v[4:5], v[22:23], -v[20:21]
	v_add_f64 v[46:47], v[30:31], -v[28:29]
	v_add_f64 v[6:7], v[14:15], v[0:1]
	v_add_f64 v[0:1], v[8:9], v[16:17]
	;; [unrolled: 1-line block ×3, first 2 shown]
	v_add_f64 v[20:21], v[20:21], -v[26:27]
	v_add_f64 v[14:15], v[16:17], -v[18:19]
	;; [unrolled: 1-line block ×3, first 2 shown]
	v_mul_f64 v[40:41], v[4:5], s[14:15]
	v_mul_f64 v[4:5], v[34:35], s[0:1]
	;; [unrolled: 1-line block ×3, first 2 shown]
	s_mov_b32 s14, 0x372fe950
	s_mov_b32 s15, 0x3fd3c6ef
	v_add_f64 v[10:11], v[18:19], v[0:1]
	v_add_f64 v[0:1], v[64:65], v[6:7]
	;; [unrolled: 1-line block ×3, first 2 shown]
	v_mul_f64 v[26:27], v[12:13], s[22:23]
	v_mul_f64 v[12:13], v[20:21], s[12:13]
	v_fma_f64 v[4:5], v[32:33], s[20:21], -v[4:5]
	v_add_f64 v[2:3], v[66:67], v[10:11]
	v_fma_f64 v[42:43], v[6:7], s[18:19], v[0:1]
	v_mul_f64 v[6:7], v[38:39], s[0:1]
	v_fma_f64 v[16:17], v[32:33], s[24:25], -v[26:27]
	v_fma_f64 v[12:13], v[22:23], s[26:27], -v[12:13]
	v_fma_f64 v[22:23], v[22:23], s[16:17], v[40:41]
	v_fma_f64 v[44:45], v[10:11], s[18:19], v[2:3]
	v_add_f64 v[10:11], v[30:31], v[28:29]
	v_add_f64 v[28:29], v[28:29], -v[24:25]
	v_add_f64 v[8:9], v[4:5], v[42:43]
	v_fma_f64 v[4:5], v[20:21], s[12:13], -v[40:41]
	v_add_f64 v[16:17], v[16:17], v[42:43]
	v_fma_f64 v[20:21], v[50:51], s[4:5], v[12:13]
	v_fma_f64 v[6:7], v[36:37], s[20:21], -v[6:7]
	v_add_f64 v[48:49], v[10:11], v[24:25]
	v_add_f64 v[24:25], v[24:25], -v[30:31]
	v_mul_f64 v[30:31], v[14:15], s[22:23]
	v_mul_f64 v[14:15], v[28:29], s[12:13]
	v_fma_f64 v[52:53], v[50:51], s[4:5], v[4:5]
	v_fma_f64 v[4:5], v[28:29], s[12:13], -v[46:47]
	v_add_f64 v[12:13], v[20:21], v[16:17]
	v_add_f64 v[16:17], v[16:17], -v[20:21]
	v_fma_f64 v[20:21], v[34:35], s[0:1], v[26:27]
	v_add_f64 v[10:11], v[6:7], v[44:45]
	s_mov_b32 s12, 0x134454ff
	s_mov_b32 s13, 0xbfee6f0e
	v_fma_f64 v[18:19], v[36:37], s[24:25], -v[30:31]
	v_fma_f64 v[14:15], v[24:25], s[26:27], -v[14:15]
	v_fma_f64 v[26:27], v[38:39], s[0:1], v[30:31]
	v_fma_f64 v[24:25], v[24:25], s[16:17], v[46:47]
	;; [unrolled: 1-line block ×4, first 2 shown]
	v_add_f64 v[4:5], v[8:9], -v[52:53]
	v_add_f64 v[8:9], v[52:53], v[8:9]
	s_mov_b32 s17, 0x3fee6f0e
	s_mov_b32 s16, s12
	;; [unrolled: 1-line block ×4, first 2 shown]
	v_add_f64 v[18:19], v[18:19], v[44:45]
	v_fma_f64 v[28:29], v[48:49], s[4:5], v[14:15]
	v_add_f64 v[26:27], v[26:27], v[44:45]
	v_fma_f64 v[32:33], v[48:49], s[4:5], v[24:25]
	s_mov_b32 s5, 0x3fe2cf23
	v_add_f64 v[6:7], v[54:55], v[10:11]
	v_add_f64 v[10:11], v[10:11], -v[54:55]
	s_mov_b32 s4, s0
	v_add_f64 v[14:15], v[18:19], -v[28:29]
	v_add_f64 v[18:19], v[28:29], v[18:19]
	v_add_f64 v[28:29], v[20:21], v[42:43]
	v_add_f64 v[22:23], v[26:27], -v[32:33]
	v_add_f64 v[26:27], v[32:33], v[26:27]
	v_add_f64 v[20:21], v[30:31], v[28:29]
	v_add_f64 v[24:25], v[28:29], -v[30:31]
	ds_write_b128 v198, v[0:3] offset:25088
	ds_write_b128 v198, v[20:23] offset:25984
	;; [unrolled: 1-line block ×7, first 2 shown]
	s_waitcnt lgkmcnt(0)
	s_barrier
	buffer_gl0_inv
	ds_read_b128 v[0:3], v212 offset:6272
	s_clause 0x3
	buffer_load_dword v6, off, s[36:39], 0 offset:1448
	buffer_load_dword v7, off, s[36:39], 0 offset:1452
	;; [unrolled: 1-line block ×4, first 2 shown]
	s_waitcnt vmcnt(0) lgkmcnt(0)
	v_mul_f64 v[4:5], v[8:9], v[2:3]
	v_fma_f64 v[12:13], v[6:7], v[0:1], v[4:5]
	v_mul_f64 v[0:1], v[8:9], v[0:1]
	v_fma_f64 v[14:15], v[6:7], v[2:3], -v[0:1]
	ds_read_b128 v[0:3], v212 offset:12544
	s_clause 0x3
	buffer_load_dword v6, off, s[36:39], 0 offset:1432
	buffer_load_dword v7, off, s[36:39], 0 offset:1436
	;; [unrolled: 1-line block ×4, first 2 shown]
	s_waitcnt vmcnt(0) lgkmcnt(0)
	v_mul_f64 v[4:5], v[8:9], v[2:3]
	v_fma_f64 v[16:17], v[6:7], v[0:1], v[4:5]
	v_mul_f64 v[0:1], v[8:9], v[0:1]
	v_fma_f64 v[20:21], v[6:7], v[2:3], -v[0:1]
	ds_read_b128 v[0:3], v212 offset:18816
	s_clause 0x3
	buffer_load_dword v6, off, s[36:39], 0 offset:1416
	buffer_load_dword v7, off, s[36:39], 0 offset:1420
	;; [unrolled: 1-line block ×4, first 2 shown]
	s_waitcnt vmcnt(0) lgkmcnt(0)
	v_mul_f64 v[4:5], v[8:9], v[2:3]
	v_fma_f64 v[18:19], v[6:7], v[0:1], v[4:5]
	v_mul_f64 v[0:1], v[8:9], v[0:1]
	v_add_f64 v[70:71], v[16:17], -v[18:19]
	v_fma_f64 v[22:23], v[6:7], v[2:3], -v[0:1]
	ds_read_b128 v[0:3], v212 offset:25088
	s_clause 0x3
	buffer_load_dword v6, off, s[36:39], 0 offset:1400
	buffer_load_dword v7, off, s[36:39], 0 offset:1404
	buffer_load_dword v8, off, s[36:39], 0 offset:1408
	buffer_load_dword v9, off, s[36:39], 0 offset:1412
	v_add_f64 v[48:49], v[20:21], -v[22:23]
	s_waitcnt vmcnt(0) lgkmcnt(0)
	v_mul_f64 v[4:5], v[8:9], v[2:3]
	v_fma_f64 v[24:25], v[6:7], v[0:1], v[4:5]
	v_mul_f64 v[0:1], v[8:9], v[0:1]
	v_add_f64 v[68:69], v[12:13], -v[24:25]
	v_fma_f64 v[26:27], v[6:7], v[2:3], -v[0:1]
	ds_read_b128 v[0:3], v212 offset:7168
	s_clause 0x3
	buffer_load_dword v6, off, s[36:39], 0 offset:1512
	buffer_load_dword v7, off, s[36:39], 0 offset:1516
	buffer_load_dword v8, off, s[36:39], 0 offset:1520
	buffer_load_dword v9, off, s[36:39], 0 offset:1524
	v_add_f64 v[30:31], v[14:15], -v[26:27]
	s_waitcnt vmcnt(0) lgkmcnt(0)
	v_mul_f64 v[4:5], v[8:9], v[2:3]
	v_fma_f64 v[32:33], v[6:7], v[0:1], v[4:5]
	v_mul_f64 v[0:1], v[8:9], v[0:1]
	v_fma_f64 v[34:35], v[6:7], v[2:3], -v[0:1]
	ds_read_b128 v[0:3], v212 offset:13440
	s_clause 0x3
	buffer_load_dword v6, off, s[36:39], 0 offset:1496
	buffer_load_dword v7, off, s[36:39], 0 offset:1500
	buffer_load_dword v8, off, s[36:39], 0 offset:1504
	buffer_load_dword v9, off, s[36:39], 0 offset:1508
	s_waitcnt vmcnt(0) lgkmcnt(0)
	v_mul_f64 v[4:5], v[8:9], v[2:3]
	v_fma_f64 v[36:37], v[6:7], v[0:1], v[4:5]
	v_mul_f64 v[0:1], v[8:9], v[0:1]
	v_fma_f64 v[40:41], v[6:7], v[2:3], -v[0:1]
	ds_read_b128 v[0:3], v212 offset:19712
	s_clause 0x3
	buffer_load_dword v6, off, s[36:39], 0 offset:1480
	buffer_load_dword v7, off, s[36:39], 0 offset:1484
	buffer_load_dword v8, off, s[36:39], 0 offset:1488
	buffer_load_dword v9, off, s[36:39], 0 offset:1492
	s_waitcnt vmcnt(0) lgkmcnt(0)
	v_mul_f64 v[4:5], v[8:9], v[2:3]
	v_fma_f64 v[38:39], v[6:7], v[0:1], v[4:5]
	v_mul_f64 v[0:1], v[8:9], v[0:1]
	v_add_f64 v[90:91], v[36:37], -v[38:39]
	v_fma_f64 v[42:43], v[6:7], v[2:3], -v[0:1]
	ds_read_b128 v[0:3], v212 offset:25984
	s_clause 0x3
	buffer_load_dword v6, off, s[36:39], 0 offset:1464
	buffer_load_dword v7, off, s[36:39], 0 offset:1468
	buffer_load_dword v8, off, s[36:39], 0 offset:1472
	buffer_load_dword v9, off, s[36:39], 0 offset:1476
	s_waitcnt vmcnt(0) lgkmcnt(0)
	v_mul_f64 v[4:5], v[8:9], v[2:3]
	v_fma_f64 v[44:45], v[6:7], v[0:1], v[4:5]
	v_mul_f64 v[0:1], v[8:9], v[0:1]
	v_fma_f64 v[46:47], v[6:7], v[2:3], -v[0:1]
	ds_read_b128 v[0:3], v212 offset:8064
	s_clause 0x3
	buffer_load_dword v6, off, s[36:39], 0 offset:1560
	buffer_load_dword v7, off, s[36:39], 0 offset:1564
	buffer_load_dword v8, off, s[36:39], 0 offset:1568
	buffer_load_dword v9, off, s[36:39], 0 offset:1572
	s_waitcnt vmcnt(0) lgkmcnt(0)
	v_mul_f64 v[4:5], v[8:9], v[2:3]
	v_fma_f64 v[52:53], v[6:7], v[0:1], v[4:5]
	v_mul_f64 v[0:1], v[8:9], v[0:1]
	v_fma_f64 v[54:55], v[6:7], v[2:3], -v[0:1]
	ds_read_b128 v[0:3], v212 offset:14336
	s_clause 0x3
	buffer_load_dword v6, off, s[36:39], 0 offset:1576
	buffer_load_dword v7, off, s[36:39], 0 offset:1580
	buffer_load_dword v8, off, s[36:39], 0 offset:1584
	buffer_load_dword v9, off, s[36:39], 0 offset:1588
	s_waitcnt vmcnt(0) lgkmcnt(0)
	v_mul_f64 v[4:5], v[8:9], v[2:3]
	v_fma_f64 v[56:57], v[6:7], v[0:1], v[4:5]
	v_mul_f64 v[0:1], v[8:9], v[0:1]
	v_fma_f64 v[60:61], v[6:7], v[2:3], -v[0:1]
	ds_read_b128 v[0:3], v212 offset:20608
	s_clause 0x3
	buffer_load_dword v6, off, s[36:39], 0 offset:1544
	buffer_load_dword v7, off, s[36:39], 0 offset:1548
	buffer_load_dword v8, off, s[36:39], 0 offset:1552
	buffer_load_dword v9, off, s[36:39], 0 offset:1556
	s_waitcnt vmcnt(0) lgkmcnt(0)
	v_mul_f64 v[4:5], v[8:9], v[2:3]
	v_fma_f64 v[58:59], v[6:7], v[0:1], v[4:5]
	v_mul_f64 v[0:1], v[8:9], v[0:1]
	v_add_f64 v[110:111], v[56:57], -v[58:59]
	v_fma_f64 v[62:63], v[6:7], v[2:3], -v[0:1]
	ds_read_b128 v[0:3], v212 offset:26880
	s_clause 0x3
	buffer_load_dword v6, off, s[36:39], 0 offset:1528
	buffer_load_dword v7, off, s[36:39], 0 offset:1532
	buffer_load_dword v8, off, s[36:39], 0 offset:1536
	buffer_load_dword v9, off, s[36:39], 0 offset:1540
	s_waitcnt vmcnt(0) lgkmcnt(0)
	v_mul_f64 v[4:5], v[8:9], v[2:3]
	v_fma_f64 v[64:65], v[6:7], v[0:1], v[4:5]
	v_mul_f64 v[0:1], v[8:9], v[0:1]
	v_fma_f64 v[66:67], v[6:7], v[2:3], -v[0:1]
	ds_read_b128 v[0:3], v212 offset:8960
	s_clause 0x3
	buffer_load_dword v6, off, s[36:39], 0 offset:1624
	buffer_load_dword v7, off, s[36:39], 0 offset:1628
	buffer_load_dword v8, off, s[36:39], 0 offset:1632
	buffer_load_dword v9, off, s[36:39], 0 offset:1636
	;; [unrolled: 45-line block ×4, first 2 shown]
	s_waitcnt vmcnt(0) lgkmcnt(0)
	v_mul_f64 v[4:5], v[8:9], v[2:3]
	v_fma_f64 v[112:113], v[6:7], v[0:1], v[4:5]
	v_mul_f64 v[0:1], v[8:9], v[0:1]
	v_fma_f64 v[116:117], v[6:7], v[2:3], -v[0:1]
	ds_read_b128 v[0:3], v212 offset:17024
	s_clause 0x3
	buffer_load_dword v6, off, s[36:39], 0 offset:1768
	buffer_load_dword v7, off, s[36:39], 0 offset:1772
	;; [unrolled: 1-line block ×4, first 2 shown]
	s_waitcnt vmcnt(0) lgkmcnt(0)
	v_mul_f64 v[4:5], v[8:9], v[2:3]
	v_fma_f64 v[114:115], v[6:7], v[0:1], v[4:5]
	v_mul_f64 v[0:1], v[8:9], v[0:1]
	v_fma_f64 v[118:119], v[6:7], v[2:3], -v[0:1]
	ds_read_b128 v[0:3], v212 offset:23296
	s_clause 0x3
	buffer_load_dword v6, off, s[36:39], 0 offset:1736
	buffer_load_dword v7, off, s[36:39], 0 offset:1740
	;; [unrolled: 1-line block ×4, first 2 shown]
	s_waitcnt vmcnt(0) lgkmcnt(0)
	v_mul_f64 v[4:5], v[8:9], v[2:3]
	v_fma_f64 v[120:121], v[6:7], v[0:1], v[4:5]
	v_mul_f64 v[0:1], v[8:9], v[0:1]
	v_add_f64 v[154:155], v[114:115], -v[120:121]
	v_fma_f64 v[122:123], v[6:7], v[2:3], -v[0:1]
	ds_read_b128 v[0:3], v212 offset:29568
	s_clause 0x3
	buffer_load_dword v6, off, s[36:39], 0 offset:1720
	buffer_load_dword v7, off, s[36:39], 0 offset:1724
	;; [unrolled: 1-line block ×4, first 2 shown]
	s_waitcnt vmcnt(0) lgkmcnt(0)
	v_mul_f64 v[4:5], v[8:9], v[2:3]
	v_fma_f64 v[140:141], v[6:7], v[0:1], v[4:5]
	v_mul_f64 v[0:1], v[8:9], v[0:1]
	v_fma_f64 v[142:143], v[6:7], v[2:3], -v[0:1]
	ds_read_b128 v[0:3], v212 offset:11648
	s_waitcnt lgkmcnt(0)
	v_mul_f64 v[4:5], v[158:159], v[2:3]
	v_fma_f64 v[128:129], v[156:157], v[0:1], v[4:5]
	v_mul_f64 v[0:1], v[158:159], v[0:1]
	v_fma_f64 v[124:125], v[156:157], v[2:3], -v[0:1]
	ds_read_b128 v[0:3], v212 offset:17920
	s_clause 0x3
	buffer_load_dword v6, off, s[36:39], 0 offset:1816
	buffer_load_dword v7, off, s[36:39], 0 offset:1820
	;; [unrolled: 1-line block ×4, first 2 shown]
	v_add_f64 v[156:157], v[114:115], -v[112:113]
	s_waitcnt vmcnt(0) lgkmcnt(0)
	v_mul_f64 v[4:5], v[8:9], v[2:3]
	v_fma_f64 v[134:135], v[6:7], v[0:1], v[4:5]
	v_mul_f64 v[0:1], v[8:9], v[0:1]
	v_fma_f64 v[126:127], v[6:7], v[2:3], -v[0:1]
	ds_read_b128 v[0:3], v212 offset:24192
	s_clause 0x3
	buffer_load_dword v6, off, s[36:39], 0 offset:1800
	buffer_load_dword v7, off, s[36:39], 0 offset:1804
	;; [unrolled: 1-line block ×4, first 2 shown]
	s_waitcnt vmcnt(0) lgkmcnt(0)
	v_mul_f64 v[4:5], v[8:9], v[2:3]
	v_fma_f64 v[132:133], v[6:7], v[0:1], v[4:5]
	v_mul_f64 v[0:1], v[8:9], v[0:1]
	v_fma_f64 v[130:131], v[6:7], v[2:3], -v[0:1]
	ds_read_b128 v[0:3], v212 offset:30464
	s_clause 0x3
	buffer_load_dword v6, off, s[36:39], 0 offset:1784
	buffer_load_dword v7, off, s[36:39], 0 offset:1788
	;; [unrolled: 1-line block ×4, first 2 shown]
	s_waitcnt vmcnt(0) lgkmcnt(0)
	v_mul_f64 v[4:5], v[8:9], v[2:3]
	v_fma_f64 v[138:139], v[6:7], v[0:1], v[4:5]
	v_mul_f64 v[0:1], v[8:9], v[0:1]
	v_add_f64 v[4:5], v[26:27], -v[22:23]
	ds_read_b128 v[8:11], v212
	v_fma_f64 v[136:137], v[6:7], v[2:3], -v[0:1]
	v_add_f64 v[0:1], v[12:13], -v[16:17]
	v_add_f64 v[2:3], v[24:25], -v[18:19]
	v_add_f64 v[6:7], v[20:21], v[22:23]
	v_add_f64 v[0:1], v[0:1], v[2:3]
	v_add_f64 v[2:3], v[14:15], -v[20:21]
	s_waitcnt lgkmcnt(0)
	v_fma_f64 v[50:51], v[6:7], -0.5, v[10:11]
	v_add_f64 v[2:3], v[2:3], v[4:5]
	v_add_f64 v[4:5], v[16:17], v[18:19]
	v_fma_f64 v[6:7], v[68:69], s[16:17], v[50:51]
	v_fma_f64 v[50:51], v[68:69], s[12:13], v[50:51]
	v_fma_f64 v[28:29], v[4:5], -0.5, v[8:9]
	v_fma_f64 v[6:7], v[70:71], s[4:5], v[6:7]
	v_fma_f64 v[50:51], v[70:71], s[0:1], v[50:51]
	;; [unrolled: 1-line block ×6, first 2 shown]
	v_add_f64 v[50:51], v[14:15], v[26:27]
	v_fma_f64 v[4:5], v[48:49], s[0:1], v[4:5]
	v_fma_f64 v[28:29], v[48:49], s[4:5], v[28:29]
	v_fma_f64 v[50:51], v[50:51], -0.5, v[10:11]
	v_add_f64 v[10:11], v[10:11], v[14:15]
	v_fma_f64 v[4:5], v[0:1], s[14:15], v[4:5]
	v_fma_f64 v[0:1], v[0:1], s[14:15], v[28:29]
	v_add_f64 v[28:29], v[12:13], v[24:25]
	v_add_f64 v[10:11], v[10:11], v[20:21]
	v_fma_f64 v[28:29], v[28:29], -0.5, v[8:9]
	v_add_f64 v[8:9], v[8:9], v[12:13]
	v_add_f64 v[12:13], v[16:17], -v[12:13]
	v_add_f64 v[10:11], v[10:11], v[22:23]
	v_fma_f64 v[88:89], v[48:49], s[16:17], v[28:29]
	v_add_f64 v[8:9], v[8:9], v[16:17]
	v_fma_f64 v[28:29], v[48:49], s[12:13], v[28:29]
	v_add_f64 v[48:49], v[18:19], -v[24:25]
	v_add_f64 v[8:9], v[8:9], v[18:19]
	v_add_f64 v[18:19], v[10:11], v[26:27]
	v_add_f64 v[10:11], v[22:23], -v[26:27]
	v_add_f64 v[12:13], v[12:13], v[48:49]
	v_fma_f64 v[22:23], v[30:31], s[0:1], v[88:89]
	v_add_f64 v[26:27], v[40:41], v[42:43]
	v_add_f64 v[88:89], v[32:33], -v[44:45]
	v_add_f64 v[16:17], v[8:9], v[24:25]
	v_add_f64 v[8:9], v[20:21], -v[14:15]
	v_fma_f64 v[14:15], v[70:71], s[12:13], v[50:51]
	v_fma_f64 v[20:21], v[70:71], s[16:17], v[50:51]
	v_fma_f64 v[24:25], v[30:31], s[4:5], v[28:29]
	ds_read_b128 v[28:31], v212 offset:896
	v_add_f64 v[50:51], v[34:35], -v[46:47]
	v_add_f64 v[8:9], v[8:9], v[10:11]
	v_fma_f64 v[10:11], v[68:69], s[4:5], v[14:15]
	v_fma_f64 v[14:15], v[68:69], s[0:1], v[20:21]
	v_fma_f64 v[20:21], v[12:13], s[14:15], v[22:23]
	v_fma_f64 v[12:13], v[12:13], s[14:15], v[24:25]
	v_add_f64 v[24:25], v[46:47], -v[42:43]
	s_waitcnt lgkmcnt(0)
	v_fma_f64 v[70:71], v[26:27], -0.5, v[30:31]
	v_add_f64 v[68:69], v[40:41], -v[42:43]
	v_fma_f64 v[22:23], v[8:9], s[14:15], v[10:11]
	v_fma_f64 v[14:15], v[8:9], s[14:15], v[14:15]
	v_add_f64 v[8:9], v[32:33], -v[36:37]
	v_add_f64 v[10:11], v[44:45], -v[38:39]
	v_fma_f64 v[26:27], v[88:89], s[16:17], v[70:71]
	v_fma_f64 v[70:71], v[88:89], s[12:13], v[70:71]
	v_add_f64 v[8:9], v[8:9], v[10:11]
	v_add_f64 v[10:11], v[34:35], -v[40:41]
	v_fma_f64 v[26:27], v[90:91], s[4:5], v[26:27]
	v_fma_f64 v[70:71], v[90:91], s[0:1], v[70:71]
	v_add_f64 v[10:11], v[10:11], v[24:25]
	v_add_f64 v[24:25], v[36:37], v[38:39]
	v_fma_f64 v[26:27], v[10:11], s[14:15], v[26:27]
	v_fma_f64 v[48:49], v[24:25], -0.5, v[28:29]
	v_fma_f64 v[10:11], v[10:11], s[14:15], v[70:71]
	v_add_f64 v[70:71], v[34:35], v[46:47]
	v_fma_f64 v[24:25], v[50:51], s[12:13], v[48:49]
	v_fma_f64 v[48:49], v[50:51], s[16:17], v[48:49]
	v_fma_f64 v[70:71], v[70:71], -0.5, v[30:31]
	v_add_f64 v[30:31], v[30:31], v[34:35]
	v_fma_f64 v[24:25], v[68:69], s[0:1], v[24:25]
	v_fma_f64 v[48:49], v[68:69], s[4:5], v[48:49]
	v_add_f64 v[30:31], v[30:31], v[40:41]
	v_fma_f64 v[24:25], v[8:9], s[14:15], v[24:25]
	v_fma_f64 v[8:9], v[8:9], s[14:15], v[48:49]
	v_add_f64 v[48:49], v[32:33], v[44:45]
	v_add_f64 v[30:31], v[30:31], v[42:43]
	v_fma_f64 v[48:49], v[48:49], -0.5, v[28:29]
	v_add_f64 v[28:29], v[28:29], v[32:33]
	v_add_f64 v[32:33], v[36:37], -v[32:33]
	v_fma_f64 v[108:109], v[68:69], s[16:17], v[48:49]
	v_add_f64 v[28:29], v[28:29], v[36:37]
	v_fma_f64 v[48:49], v[68:69], s[12:13], v[48:49]
	v_add_f64 v[68:69], v[38:39], -v[44:45]
	v_add_f64 v[28:29], v[28:29], v[38:39]
	v_add_f64 v[38:39], v[30:31], v[46:47]
	v_add_f64 v[30:31], v[42:43], -v[46:47]
	v_add_f64 v[32:33], v[32:33], v[68:69]
	v_fma_f64 v[42:43], v[50:51], s[0:1], v[108:109]
	v_add_f64 v[46:47], v[60:61], v[62:63]
	v_add_f64 v[108:109], v[52:53], -v[64:65]
	v_add_f64 v[36:37], v[28:29], v[44:45]
	v_add_f64 v[28:29], v[40:41], -v[34:35]
	v_fma_f64 v[34:35], v[90:91], s[12:13], v[70:71]
	v_fma_f64 v[40:41], v[90:91], s[16:17], v[70:71]
	v_fma_f64 v[44:45], v[50:51], s[4:5], v[48:49]
	ds_read_b128 v[48:51], v212 offset:1792
	v_add_f64 v[70:71], v[54:55], -v[66:67]
	v_add_f64 v[28:29], v[28:29], v[30:31]
	v_fma_f64 v[30:31], v[88:89], s[4:5], v[34:35]
	v_fma_f64 v[34:35], v[88:89], s[0:1], v[40:41]
	v_fma_f64 v[40:41], v[32:33], s[14:15], v[42:43]
	v_fma_f64 v[32:33], v[32:33], s[14:15], v[44:45]
	v_add_f64 v[44:45], v[66:67], -v[62:63]
	s_waitcnt lgkmcnt(0)
	v_fma_f64 v[90:91], v[46:47], -0.5, v[50:51]
	v_add_f64 v[88:89], v[60:61], -v[62:63]
	v_fma_f64 v[42:43], v[28:29], s[14:15], v[30:31]
	v_fma_f64 v[34:35], v[28:29], s[14:15], v[34:35]
	v_add_f64 v[28:29], v[52:53], -v[56:57]
	v_add_f64 v[30:31], v[64:65], -v[58:59]
	v_fma_f64 v[46:47], v[108:109], s[16:17], v[90:91]
	v_fma_f64 v[90:91], v[108:109], s[12:13], v[90:91]
	v_add_f64 v[28:29], v[28:29], v[30:31]
	v_add_f64 v[30:31], v[54:55], -v[60:61]
	v_fma_f64 v[46:47], v[110:111], s[4:5], v[46:47]
	v_fma_f64 v[90:91], v[110:111], s[0:1], v[90:91]
	v_add_f64 v[30:31], v[30:31], v[44:45]
	v_add_f64 v[44:45], v[56:57], v[58:59]
	v_fma_f64 v[46:47], v[30:31], s[14:15], v[46:47]
	v_fma_f64 v[68:69], v[44:45], -0.5, v[48:49]
	v_fma_f64 v[30:31], v[30:31], s[14:15], v[90:91]
	v_add_f64 v[90:91], v[54:55], v[66:67]
	v_fma_f64 v[44:45], v[70:71], s[12:13], v[68:69]
	v_fma_f64 v[68:69], v[70:71], s[16:17], v[68:69]
	v_fma_f64 v[90:91], v[90:91], -0.5, v[50:51]
	v_add_f64 v[50:51], v[50:51], v[54:55]
	v_fma_f64 v[44:45], v[88:89], s[0:1], v[44:45]
	v_fma_f64 v[68:69], v[88:89], s[4:5], v[68:69]
	v_add_f64 v[50:51], v[50:51], v[60:61]
	v_fma_f64 v[44:45], v[28:29], s[14:15], v[44:45]
	v_fma_f64 v[28:29], v[28:29], s[14:15], v[68:69]
	v_add_f64 v[68:69], v[52:53], v[64:65]
	v_add_f64 v[50:51], v[50:51], v[62:63]
	v_fma_f64 v[68:69], v[68:69], -0.5, v[48:49]
	v_add_f64 v[48:49], v[48:49], v[52:53]
	v_add_f64 v[52:53], v[56:57], -v[52:53]
	;; [unrolled: 57-line block ×4, first 2 shown]
	v_fma_f64 v[152:153], v[144:145], s[16:17], v[108:109]
	v_add_f64 v[88:89], v[88:89], v[96:97]
	v_fma_f64 v[108:109], v[144:145], s[12:13], v[108:109]
	v_add_f64 v[144:145], v[98:99], -v[104:105]
	v_add_f64 v[88:89], v[88:89], v[98:99]
	v_add_f64 v[98:99], v[90:91], v[106:107]
	v_add_f64 v[90:91], v[102:103], -v[106:107]
	v_add_f64 v[92:93], v[92:93], v[144:145]
	v_fma_f64 v[102:103], v[110:111], s[0:1], v[152:153]
	v_add_f64 v[106:107], v[118:119], v[122:123]
	v_add_f64 v[152:153], v[112:113], -v[140:141]
	v_add_f64 v[96:97], v[88:89], v[104:105]
	v_add_f64 v[88:89], v[100:101], -v[94:95]
	v_fma_f64 v[94:95], v[150:151], s[12:13], v[146:147]
	v_fma_f64 v[100:101], v[150:151], s[16:17], v[146:147]
	;; [unrolled: 1-line block ×3, first 2 shown]
	ds_read_b128 v[108:111], v212 offset:4480
	v_add_f64 v[146:147], v[116:117], -v[142:143]
	v_add_f64 v[88:89], v[88:89], v[90:91]
	v_fma_f64 v[90:91], v[148:149], s[4:5], v[94:95]
	v_fma_f64 v[94:95], v[148:149], s[0:1], v[100:101]
	;; [unrolled: 1-line block ×4, first 2 shown]
	v_add_f64 v[104:105], v[142:143], -v[122:123]
	s_waitcnt lgkmcnt(0)
	v_fma_f64 v[150:151], v[106:107], -0.5, v[110:111]
	v_add_f64 v[148:149], v[118:119], -v[122:123]
	v_fma_f64 v[102:103], v[88:89], s[14:15], v[90:91]
	v_fma_f64 v[94:95], v[88:89], s[14:15], v[94:95]
	v_add_f64 v[88:89], v[112:113], -v[114:115]
	v_add_f64 v[90:91], v[140:141], -v[120:121]
	v_fma_f64 v[106:107], v[152:153], s[16:17], v[150:151]
	v_fma_f64 v[150:151], v[152:153], s[12:13], v[150:151]
	v_add_f64 v[88:89], v[88:89], v[90:91]
	v_add_f64 v[90:91], v[116:117], -v[118:119]
	v_fma_f64 v[106:107], v[154:155], s[4:5], v[106:107]
	v_fma_f64 v[150:151], v[154:155], s[0:1], v[150:151]
	v_add_f64 v[90:91], v[90:91], v[104:105]
	v_add_f64 v[104:105], v[114:115], v[120:121]
	v_fma_f64 v[106:107], v[90:91], s[14:15], v[106:107]
	v_fma_f64 v[144:145], v[104:105], -0.5, v[108:109]
	v_fma_f64 v[90:91], v[90:91], s[14:15], v[150:151]
	v_add_f64 v[150:151], v[116:117], v[142:143]
	v_fma_f64 v[104:105], v[146:147], s[12:13], v[144:145]
	v_fma_f64 v[144:145], v[146:147], s[16:17], v[144:145]
	v_fma_f64 v[150:151], v[150:151], -0.5, v[110:111]
	v_add_f64 v[110:111], v[110:111], v[116:117]
	v_fma_f64 v[104:105], v[148:149], s[0:1], v[104:105]
	v_fma_f64 v[144:145], v[148:149], s[4:5], v[144:145]
	v_add_f64 v[110:111], v[110:111], v[118:119]
	v_fma_f64 v[104:105], v[88:89], s[14:15], v[104:105]
	v_fma_f64 v[88:89], v[88:89], s[14:15], v[144:145]
	v_add_f64 v[144:145], v[112:113], v[140:141]
	v_add_f64 v[110:111], v[110:111], v[122:123]
	v_fma_f64 v[144:145], v[144:145], -0.5, v[108:109]
	v_add_f64 v[108:109], v[108:109], v[112:113]
	v_fma_f64 v[158:159], v[148:149], s[16:17], v[144:145]
	v_add_f64 v[108:109], v[108:109], v[114:115]
	v_fma_f64 v[144:145], v[148:149], s[12:13], v[144:145]
	v_add_f64 v[114:115], v[110:111], v[142:143]
	v_add_f64 v[110:111], v[122:123], -v[142:143]
	v_fma_f64 v[122:123], v[146:147], s[0:1], v[158:159]
	v_add_f64 v[108:109], v[108:109], v[120:121]
	v_add_f64 v[120:121], v[120:121], -v[140:141]
	v_add_f64 v[158:159], v[134:135], -v[132:133]
	v_add_f64 v[112:113], v[108:109], v[140:141]
	v_add_f64 v[108:109], v[118:119], -v[116:117]
	v_fma_f64 v[116:117], v[154:155], s[12:13], v[150:151]
	v_fma_f64 v[118:119], v[154:155], s[16:17], v[150:151]
	v_add_f64 v[120:121], v[156:157], v[120:121]
	v_fma_f64 v[140:141], v[146:147], s[4:5], v[144:145]
	v_add_f64 v[146:147], v[126:127], v[130:131]
	v_add_f64 v[144:145], v[134:135], v[132:133]
	v_add_f64 v[156:157], v[128:129], -v[138:139]
	v_add_f64 v[150:151], v[124:125], -v[136:137]
	v_add_f64 v[110:111], v[108:109], v[110:111]
	v_fma_f64 v[108:109], v[152:153], s[4:5], v[116:117]
	v_fma_f64 v[142:143], v[152:153], s[0:1], v[118:119]
	;; [unrolled: 1-line block ×3, first 2 shown]
	v_add_f64 v[122:123], v[138:139], -v[132:133]
	v_add_f64 v[152:153], v[126:127], -v[130:131]
	v_fma_f64 v[118:119], v[110:111], s[14:15], v[108:109]
	v_fma_f64 v[108:109], v[120:121], s[14:15], v[140:141]
	v_add_f64 v[120:121], v[128:129], -v[134:135]
	v_fma_f64 v[110:111], v[110:111], s[14:15], v[142:143]
	v_add_f64 v[140:141], v[120:121], v[122:123]
	v_add_f64 v[120:121], v[124:125], -v[126:127]
	v_add_f64 v[122:123], v[136:137], -v[130:131]
	v_add_f64 v[142:143], v[120:121], v[122:123]
	ds_read_b128 v[120:123], v212 offset:5376
	s_waitcnt lgkmcnt(0)
	v_fma_f64 v[154:155], v[146:147], -0.5, v[122:123]
	v_fma_f64 v[148:149], v[144:145], -0.5, v[120:121]
	v_fma_f64 v[146:147], v[156:157], s[16:17], v[154:155]
	v_fma_f64 v[154:155], v[156:157], s[12:13], v[154:155]
	;; [unrolled: 1-line block ×10, first 2 shown]
	v_add_f64 v[154:155], v[124:125], v[136:137]
	v_fma_f64 v[144:145], v[140:141], s[14:15], v[144:145]
	v_fma_f64 v[140:141], v[140:141], s[14:15], v[148:149]
	v_add_f64 v[148:149], v[128:129], v[138:139]
	v_fma_f64 v[154:155], v[154:155], -0.5, v[122:123]
	v_add_f64 v[122:123], v[122:123], v[124:125]
	v_add_f64 v[124:125], v[126:127], -v[124:125]
	v_fma_f64 v[148:149], v[148:149], -0.5, v[120:121]
	v_add_f64 v[120:121], v[120:121], v[128:129]
	v_add_f64 v[128:129], v[134:135], -v[128:129]
	v_add_f64 v[122:123], v[122:123], v[126:127]
	v_add_f64 v[126:127], v[130:131], -v[136:137]
	v_add_f64 v[120:121], v[120:121], v[134:135]
	v_fma_f64 v[134:135], v[152:153], s[16:17], v[148:149]
	v_fma_f64 v[148:149], v[152:153], s[12:13], v[148:149]
	v_add_f64 v[122:123], v[122:123], v[130:131]
	v_fma_f64 v[130:131], v[158:159], s[12:13], v[154:155]
	v_add_f64 v[120:121], v[120:121], v[132:133]
	v_add_f64 v[132:133], v[132:133], -v[138:139]
	v_add_f64 v[122:123], v[122:123], v[136:137]
	v_fma_f64 v[136:137], v[158:159], s[16:17], v[154:155]
	v_add_f64 v[120:121], v[120:121], v[138:139]
	v_add_f64 v[128:129], v[128:129], v[132:133]
	v_fma_f64 v[132:133], v[150:151], s[0:1], v[134:135]
	v_fma_f64 v[134:135], v[150:151], s[4:5], v[148:149]
	v_add_f64 v[138:139], v[124:125], v[126:127]
	v_fma_f64 v[126:127], v[156:157], s[4:5], v[130:131]
	s_mov_b32 s4, 0xec259dc8
	s_mov_b32 s5, 0x3f40b7e6
	v_fma_f64 v[130:131], v[156:157], s[0:1], v[136:137]
	s_mul_hi_u32 s1, s8, 0x1ea
	v_fma_f64 v[124:125], v[128:129], s[14:15], v[132:133]
	v_fma_f64 v[128:129], v[128:129], s[14:15], v[134:135]
	;; [unrolled: 1-line block ×4, first 2 shown]
	ds_write_b128 v212, v[16:19]
	ds_write_b128 v212, v[4:7] offset:6272
	ds_write_b128 v212, v[20:23] offset:12544
	;; [unrolled: 1-line block ×34, first 2 shown]
	s_waitcnt lgkmcnt(0)
	s_barrier
	buffer_gl0_inv
	ds_read_b128 v[0:3], v212
	s_clause 0x3
	buffer_load_dword v19, off, s[36:39], 0 offset:368
	buffer_load_dword v20, off, s[36:39], 0 offset:372
	;; [unrolled: 1-line block ×4, first 2 shown]
	ds_read_b128 v[4:7], v212 offset:7840
	s_clause 0x1
	buffer_load_dword v8, off, s[36:39], 0 offset:344
	buffer_load_dword v9, off, s[36:39], 0 offset:348
	v_mad_u64_u32 v[26:27], null, s8, v196, 0
	v_mov_b32_e32 v17, v27
	s_waitcnt vmcnt(2) lgkmcnt(1)
	v_mul_f64 v[12:13], v[21:22], v[2:3]
	v_mul_f64 v[14:15], v[21:22], v[0:1]
	s_waitcnt vmcnt(1)
	v_mov_b32_e32 v18, v8
	s_waitcnt vmcnt(0)
	ds_read_b128 v[8:11], v212 offset:15680
	s_clause 0x3
	buffer_load_dword v38, off, s[36:39], 0 offset:416
	buffer_load_dword v39, off, s[36:39], 0 offset:420
	;; [unrolled: 1-line block ×4, first 2 shown]
	v_mad_u64_u32 v[24:25], null, s10, v18, 0
	s_mul_i32 s10, s8, 0xffffa7a0
	v_mov_b32_e32 v16, v25
	v_fma_f64 v[0:1], v[19:20], v[0:1], v[12:13]
	v_fma_f64 v[2:3], v[19:20], v[2:3], -v[14:15]
	v_mad_u64_u32 v[20:21], null, s11, v18, v[16:17]
	ds_read_b128 v[12:15], v212 offset:23520
	v_mad_u64_u32 v[21:22], null, s9, v196, v[17:18]
	ds_read_b128 v[16:19], v212 offset:896
	s_clause 0x7
	buffer_load_dword v52, off, s[36:39], 0 offset:400
	buffer_load_dword v53, off, s[36:39], 0 offset:404
	;; [unrolled: 1-line block ×8, first 2 shown]
	v_mov_b32_e32 v25, v20
	s_clause 0x3
	buffer_load_dword v44, off, s[36:39], 0 offset:120
	buffer_load_dword v45, off, s[36:39], 0 offset:124
	;; [unrolled: 1-line block ×4, first 2 shown]
	v_mov_b32_e32 v27, v21
	v_mul_f64 v[20:21], v[0:1], s[4:5]
	v_mul_f64 v[22:23], v[2:3], s[4:5]
	v_lshlrev_b64 v[0:1], 4, v[24:25]
	v_lshlrev_b64 v[24:25], 4, v[26:27]
	v_add_co_u32 v2, s0, s2, v0
	v_add_co_ci_u32_e64 v3, s0, s3, v1, s0
	v_add_co_u32 v42, s0, v2, v24
	v_add_co_ci_u32_e64 v43, s0, v3, v25, s0
	s_mul_i32 s0, s9, 0x1ea
	s_add_i32 s1, s1, s0
	s_mul_i32 s0, s8, 0x1ea
	s_lshl_b64 s[2:3], s[0:1], 4
	s_mul_i32 s1, s9, 0xffffa7a0
	s_waitcnt vmcnt(12) lgkmcnt(3)
	v_mul_f64 v[28:29], v[40:41], v[6:7]
	v_mul_f64 v[30:31], v[40:41], v[4:5]
	v_fma_f64 v[28:29], v[38:39], v[4:5], v[28:29]
	v_fma_f64 v[30:31], v[38:39], v[6:7], -v[30:31]
	s_waitcnt vmcnt(8) lgkmcnt(2)
	v_mul_f64 v[32:33], v[54:55], v[10:11]
	v_mul_f64 v[34:35], v[54:55], v[8:9]
	s_waitcnt vmcnt(4) lgkmcnt(1)
	v_mul_f64 v[36:37], v[50:51], v[14:15]
	v_mul_f64 v[38:39], v[50:51], v[12:13]
	;; [unrolled: 3-line block ×3, first 2 shown]
	v_fma_f64 v[32:33], v[52:53], v[8:9], v[32:33]
	v_fma_f64 v[34:35], v[52:53], v[10:11], -v[34:35]
	ds_read_b128 v[4:7], v212 offset:8736
	ds_read_b128 v[8:11], v212 offset:16576
	;; [unrolled: 1-line block ×3, first 2 shown]
	global_store_dwordx4 v[42:43], v[20:23], off
	s_clause 0x3
	buffer_load_dword v62, off, s[36:39], 0 offset:88
	buffer_load_dword v63, off, s[36:39], 0 offset:92
	;; [unrolled: 1-line block ×4, first 2 shown]
	v_fma_f64 v[36:37], v[48:49], v[12:13], v[36:37]
	v_fma_f64 v[38:39], v[48:49], v[14:15], -v[38:39]
	v_fma_f64 v[0:1], v[44:45], v[16:17], v[0:1]
	v_fma_f64 v[40:41], v[44:45], v[18:19], -v[40:41]
	ds_read_b128 v[20:23], v212 offset:1792
	v_add_co_u32 v44, s0, v42, s2
	v_mul_f64 v[14:15], v[30:31], s[4:5]
	v_add_co_ci_u32_e64 v45, s0, s3, v43, s0
	v_mul_f64 v[12:13], v[28:29], s[4:5]
	v_add_co_u32 v50, s0, v44, s2
	v_add_co_ci_u32_e64 v51, s0, s3, v45, s0
	v_add_co_u32 v56, s0, v50, s2
	v_mul_f64 v[16:17], v[32:33], s[4:5]
	v_mul_f64 v[18:19], v[34:35], s[4:5]
	v_add_co_ci_u32_e64 v57, s0, s3, v51, s0
	v_mul_f64 v[28:29], v[36:37], s[4:5]
	v_mul_f64 v[30:31], v[38:39], s[4:5]
	;; [unrolled: 1-line block ×4, first 2 shown]
	s_mul_hi_u32 s0, s8, 0xffffa7a0
	s_sub_i32 s0, s0, s8
	s_add_i32 s1, s0, s1
	v_add_co_u32 v68, s0, v56, s10
	v_add_co_ci_u32_e64 v69, s0, s1, v57, s0
	s_waitcnt vmcnt(0) lgkmcnt(3)
	v_mul_f64 v[46:47], v[64:65], v[6:7]
	v_mul_f64 v[48:49], v[64:65], v[4:5]
	s_clause 0x3
	buffer_load_dword v64, off, s[36:39], 0 offset:72
	buffer_load_dword v65, off, s[36:39], 0 offset:76
	buffer_load_dword v66, off, s[36:39], 0 offset:80
	buffer_load_dword v67, off, s[36:39], 0 offset:84
	ds_read_b128 v[32:35], v212 offset:9632
	s_clause 0x3
	buffer_load_dword v70, off, s[36:39], 0 offset:56
	buffer_load_dword v71, off, s[36:39], 0 offset:60
	buffer_load_dword v72, off, s[36:39], 0 offset:64
	buffer_load_dword v73, off, s[36:39], 0 offset:68
	ds_read_b128 v[40:43], v212 offset:2688
	s_clause 0x3
	buffer_load_dword v76, off, s[36:39], 0 offset:232
	buffer_load_dword v77, off, s[36:39], 0 offset:236
	;; [unrolled: 1-line block ×4, first 2 shown]
	v_fma_f64 v[46:47], v[62:63], v[4:5], v[46:47]
	v_fma_f64 v[48:49], v[62:63], v[6:7], -v[48:49]
	ds_read_b128 v[4:7], v212 offset:10528
	s_waitcnt vmcnt(8) lgkmcnt(5)
	v_mul_f64 v[52:53], v[66:67], v[10:11]
	v_mul_f64 v[54:55], v[66:67], v[8:9]
	s_waitcnt vmcnt(4) lgkmcnt(4)
	v_mul_f64 v[0:1], v[72:73], v[26:27]
	v_mul_f64 v[58:59], v[72:73], v[24:25]
	s_clause 0x3
	buffer_load_dword v72, off, s[36:39], 0 offset:216
	buffer_load_dword v73, off, s[36:39], 0 offset:220
	;; [unrolled: 1-line block ×4, first 2 shown]
	s_waitcnt vmcnt(4) lgkmcnt(3)
	v_mul_f64 v[60:61], v[78:79], v[22:23]
	v_mul_f64 v[62:63], v[78:79], v[20:21]
	global_store_dwordx4 v[44:45], v[12:15], off
	v_mul_f64 v[12:13], v[46:47], s[4:5]
	v_mul_f64 v[14:15], v[48:49], s[4:5]
	v_add_co_u32 v48, s0, v68, s2
	v_add_co_ci_u32_e64 v49, s0, s3, v69, s0
	v_fma_f64 v[52:53], v[64:65], v[8:9], v[52:53]
	v_fma_f64 v[54:55], v[64:65], v[10:11], -v[54:55]
	ds_read_b128 v[8:11], v212 offset:17472
	global_store_dwordx4 v[50:51], v[16:19], off
	global_store_dwordx4 v[56:57], v[28:31], off
	;; [unrolled: 1-line block ×3, first 2 shown]
	v_fma_f64 v[0:1], v[70:71], v[24:25], v[0:1]
	v_fma_f64 v[30:31], v[70:71], v[26:27], -v[58:59]
	v_fma_f64 v[36:37], v[76:77], v[20:21], v[60:61]
	v_fma_f64 v[44:45], v[76:77], v[22:23], -v[62:63]
	ds_read_b128 v[16:19], v212 offset:25312
	ds_read_b128 v[24:27], v212 offset:18368
	v_add_co_u32 v56, s0, v48, s2
	v_add_co_ci_u32_e64 v57, s0, s3, v49, s0
	v_add_co_u32 v60, s0, v56, s2
	v_add_co_ci_u32_e64 v61, s0, s3, v57, s0
	v_mul_f64 v[20:21], v[52:53], s[4:5]
	v_mul_f64 v[22:23], v[54:55], s[4:5]
	;; [unrolled: 1-line block ×4, first 2 shown]
	s_waitcnt vmcnt(0) lgkmcnt(5)
	v_mul_f64 v[64:65], v[74:75], v[34:35]
	v_mul_f64 v[66:67], v[74:75], v[32:33]
	s_clause 0x3
	buffer_load_dword v74, off, s[36:39], 0 offset:184
	buffer_load_dword v75, off, s[36:39], 0 offset:188
	;; [unrolled: 1-line block ×4, first 2 shown]
	v_fma_f64 v[46:47], v[72:73], v[32:33], v[64:65]
	v_fma_f64 v[50:51], v[72:73], v[34:35], -v[66:67]
	v_mul_f64 v[32:33], v[36:37], s[4:5]
	ds_read_b128 v[36:39], v212 offset:26208
	s_clause 0x3
	buffer_load_dword v70, off, s[36:39], 0 offset:168
	buffer_load_dword v71, off, s[36:39], 0 offset:172
	;; [unrolled: 1-line block ×4, first 2 shown]
	v_mul_f64 v[34:35], v[44:45], s[4:5]
	v_mul_f64 v[44:45], v[46:47], s[4:5]
	v_mul_f64 v[46:47], v[50:51], s[4:5]
	s_waitcnt vmcnt(4) lgkmcnt(3)
	v_mul_f64 v[52:53], v[76:77], v[10:11]
	v_mul_f64 v[54:55], v[76:77], v[8:9]
	s_clause 0x3
	buffer_load_dword v76, off, s[36:39], 0 offset:264
	buffer_load_dword v77, off, s[36:39], 0 offset:268
	;; [unrolled: 1-line block ×4, first 2 shown]
	v_fma_f64 v[8:9], v[74:75], v[8:9], v[52:53]
	v_fma_f64 v[10:11], v[74:75], v[10:11], -v[54:55]
	s_waitcnt vmcnt(4) lgkmcnt(2)
	v_mul_f64 v[58:59], v[72:73], v[16:17]
	v_mul_f64 v[0:1], v[72:73], v[18:19]
	v_fma_f64 v[18:19], v[70:71], v[18:19], -v[58:59]
	v_fma_f64 v[0:1], v[70:71], v[16:17], v[0:1]
	v_mul_f64 v[18:19], v[18:19], s[4:5]
	s_waitcnt vmcnt(0)
	v_mul_f64 v[62:63], v[78:79], v[42:43]
	v_mul_f64 v[64:65], v[78:79], v[40:41]
	s_clause 0x3
	buffer_load_dword v78, off, s[36:39], 0 offset:560
	buffer_load_dword v79, off, s[36:39], 0 offset:564
	buffer_load_dword v80, off, s[36:39], 0 offset:568
	buffer_load_dword v81, off, s[36:39], 0 offset:572
	global_store_dwordx4 v[48:49], v[12:15], off
	v_add_co_u32 v12, s0, v60, s10
	v_add_co_ci_u32_e64 v13, s0, s1, v61, s0
	global_store_dwordx4 v[56:57], v[20:23], off
	global_store_dwordx4 v[60:61], v[28:31], off
	v_add_co_u32 v16, s0, v12, s2
	global_store_dwordx4 v[12:13], v[32:35], off
	s_clause 0x3
	buffer_load_dword v56, off, s[36:39], 0 offset:544
	buffer_load_dword v57, off, s[36:39], 0 offset:548
	;; [unrolled: 1-line block ×4, first 2 shown]
	v_add_co_ci_u32_e64 v17, s0, s3, v13, s0
	global_store_dwordx4 v[16:17], v[44:47], off
	v_add_co_u32 v44, s0, v16, s2
	v_add_co_ci_u32_e64 v45, s0, s3, v17, s0
	v_fma_f64 v[20:21], v[76:77], v[40:41], v[62:63]
	v_fma_f64 v[22:23], v[76:77], v[42:43], -v[64:65]
	v_mul_f64 v[16:17], v[0:1], s[4:5]
	v_add_co_u32 v46, s0, v44, s2
	v_add_co_ci_u32_e64 v47, s0, s3, v45, s0
	v_add_co_u32 v62, s0, v46, s10
	v_add_co_ci_u32_e64 v63, s0, s1, v47, s0
	v_mul_f64 v[20:21], v[20:21], s[4:5]
	v_mul_f64 v[22:23], v[22:23], s[4:5]
	s_waitcnt vmcnt(4)
	v_mul_f64 v[66:67], v[80:81], v[6:7]
	v_mul_f64 v[68:69], v[80:81], v[4:5]
	s_waitcnt vmcnt(0) lgkmcnt(1)
	v_mul_f64 v[32:33], v[58:59], v[26:27]
	v_mul_f64 v[40:41], v[58:59], v[24:25]
	v_fma_f64 v[28:29], v[78:79], v[4:5], v[66:67]
	v_fma_f64 v[30:31], v[78:79], v[6:7], -v[68:69]
	v_mul_f64 v[4:5], v[8:9], s[4:5]
	v_mul_f64 v[6:7], v[10:11], s[4:5]
	ds_read_b128 v[8:11], v212 offset:3584
	ds_read_b128 v[12:15], v212 offset:11424
	s_clause 0x3
	buffer_load_dword v72, off, s[36:39], 0 offset:528
	buffer_load_dword v73, off, s[36:39], 0 offset:532
	;; [unrolled: 1-line block ×4, first 2 shown]
	v_fma_f64 v[48:49], v[56:57], v[24:25], v[32:33]
	ds_read_b128 v[32:35], v212 offset:4480
	s_clause 0x3
	buffer_load_dword v68, off, s[36:39], 0 offset:512
	buffer_load_dword v69, off, s[36:39], 0 offset:516
	;; [unrolled: 1-line block ×4, first 2 shown]
	v_fma_f64 v[56:57], v[56:57], v[26:27], -v[40:41]
	ds_read_b128 v[24:27], v212 offset:12320
	s_clause 0x3
	buffer_load_dword v64, off, s[36:39], 0 offset:496
	buffer_load_dword v65, off, s[36:39], 0 offset:500
	;; [unrolled: 1-line block ×4, first 2 shown]
	ds_read_b128 v[40:43], v212 offset:19264
	v_mul_f64 v[28:29], v[28:29], s[4:5]
	v_mul_f64 v[30:31], v[30:31], s[4:5]
	global_store_dwordx4 v[44:45], v[4:7], off
	ds_read_b128 v[4:7], v212 offset:27104
	s_waitcnt vmcnt(8) lgkmcnt(6)
	v_mul_f64 v[0:1], v[74:75], v[38:39]
	v_mul_f64 v[50:51], v[74:75], v[36:37]
	s_waitcnt vmcnt(4) lgkmcnt(5)
	v_mul_f64 v[52:53], v[70:71], v[10:11]
	v_mul_f64 v[54:55], v[70:71], v[8:9]
	s_waitcnt vmcnt(0) lgkmcnt(4)
	v_mul_f64 v[58:59], v[66:67], v[14:15]
	v_mul_f64 v[60:61], v[66:67], v[12:13]
	v_fma_f64 v[0:1], v[72:73], v[36:37], v[0:1]
	v_add_co_u32 v36, s0, v62, s2
	v_add_co_ci_u32_e64 v37, s0, s3, v63, s0
	global_store_dwordx4 v[46:47], v[16:19], off
	global_store_dwordx4 v[62:63], v[20:23], off
	;; [unrolled: 1-line block ×3, first 2 shown]
	v_fma_f64 v[18:19], v[72:73], v[38:39], -v[50:51]
	v_fma_f64 v[28:29], v[68:69], v[8:9], v[52:53]
	v_fma_f64 v[30:31], v[68:69], v[10:11], -v[54:55]
	v_fma_f64 v[38:39], v[64:65], v[12:13], v[58:59]
	v_fma_f64 v[44:45], v[64:65], v[14:15], -v[60:61]
	ds_read_b128 v[12:15], v212 offset:20160
	s_clause 0x3
	buffer_load_dword v72, off, s[36:39], 0 offset:480
	buffer_load_dword v73, off, s[36:39], 0 offset:484
	;; [unrolled: 1-line block ×4, first 2 shown]
	ds_read_b128 v[20:23], v212 offset:28000
	s_clause 0x3
	buffer_load_dword v64, off, s[36:39], 0 offset:432
	buffer_load_dword v65, off, s[36:39], 0 offset:436
	;; [unrolled: 1-line block ×4, first 2 shown]
	v_mul_f64 v[10:11], v[56:57], s[4:5]
	v_mul_f64 v[8:9], v[48:49], s[4:5]
	v_add_co_u32 v50, s0, v36, s2
	v_add_co_ci_u32_e64 v51, s0, s3, v37, s0
	v_mul_f64 v[16:17], v[0:1], s[4:5]
	v_add_co_u32 v62, s0, v50, s2
	v_add_co_ci_u32_e64 v63, s0, s3, v51, s0
	v_mul_f64 v[18:19], v[18:19], s[4:5]
	v_mul_f64 v[28:29], v[28:29], s[4:5]
	;; [unrolled: 1-line block ×5, first 2 shown]
	s_waitcnt vmcnt(4) lgkmcnt(3)
	v_mul_f64 v[46:47], v[74:75], v[42:43]
	v_mul_f64 v[48:49], v[74:75], v[40:41]
	s_waitcnt vmcnt(0) lgkmcnt(2)
	v_mul_f64 v[0:1], v[66:67], v[6:7]
	v_mul_f64 v[52:53], v[66:67], v[4:5]
	s_clause 0x3
	buffer_load_dword v66, off, s[36:39], 0 offset:448
	buffer_load_dword v67, off, s[36:39], 0 offset:452
	;; [unrolled: 1-line block ×4, first 2 shown]
	v_fma_f64 v[40:41], v[72:73], v[40:41], v[46:47]
	v_fma_f64 v[42:43], v[72:73], v[42:43], -v[48:49]
	v_fma_f64 v[0:1], v[64:65], v[4:5], v[0:1]
	v_mul_f64 v[4:5], v[40:41], s[4:5]
	s_waitcnt vmcnt(0)
	v_mul_f64 v[54:55], v[68:69], v[34:35]
	v_mul_f64 v[56:57], v[68:69], v[32:33]
	s_clause 0x3
	buffer_load_dword v68, off, s[36:39], 0 offset:464
	buffer_load_dword v69, off, s[36:39], 0 offset:468
	;; [unrolled: 1-line block ×4, first 2 shown]
	global_store_dwordx4 v[50:51], v[8:11], off
	v_add_co_u32 v8, s0, v62, s10
	v_add_co_ci_u32_e64 v9, s0, s1, v63, s0
	global_store_dwordx4 v[62:63], v[16:19], off
	global_store_dwordx4 v[8:9], v[28:31], off
	v_fma_f64 v[10:11], v[64:65], v[6:7], -v[52:53]
	v_mul_f64 v[6:7], v[42:43], s[4:5]
	v_fma_f64 v[32:33], v[66:67], v[32:33], v[54:55]
	v_fma_f64 v[34:35], v[66:67], v[34:35], -v[56:57]
	v_mul_f64 v[10:11], v[10:11], s[4:5]
	s_waitcnt vmcnt(0)
	v_mul_f64 v[58:59], v[70:71], v[26:27]
	v_mul_f64 v[60:61], v[70:71], v[24:25]
	v_fma_f64 v[44:45], v[68:69], v[24:25], v[58:59]
	s_clause 0x3
	buffer_load_dword v56, off, s[36:39], 0 offset:384
	buffer_load_dword v57, off, s[36:39], 0 offset:388
	;; [unrolled: 1-line block ×4, first 2 shown]
	v_add_co_u32 v24, s0, v8, s2
	v_add_co_ci_u32_e64 v25, s0, s3, v9, s0
	v_fma_f64 v[46:47], v[68:69], v[26:27], -v[60:61]
	v_add_co_u32 v40, s0, v24, s2
	global_store_dwordx4 v[24:25], v[36:39], off
	s_clause 0x3
	buffer_load_dword v52, off, s[36:39], 0 offset:352
	buffer_load_dword v53, off, s[36:39], 0 offset:356
	;; [unrolled: 1-line block ×4, first 2 shown]
	v_mul_f64 v[8:9], v[0:1], s[4:5]
	v_add_co_ci_u32_e64 v41, s0, s3, v25, s0
	v_mul_f64 v[24:25], v[32:33], s[4:5]
	v_mul_f64 v[26:27], v[34:35], s[4:5]
	v_add_co_u32 v0, s0, v40, s2
	v_add_co_ci_u32_e64 v1, s0, s3, v41, s0
	ds_read_b128 v[16:19], v212 offset:5376
	v_add_co_u32 v42, s0, v0, s10
	v_mul_f64 v[28:29], v[44:45], s[4:5]
	v_add_co_ci_u32_e64 v43, s0, s1, v1, s0
	v_mul_f64 v[30:31], v[46:47], s[4:5]
	s_waitcnt vmcnt(4) lgkmcnt(2)
	v_mul_f64 v[48:49], v[58:59], v[14:15]
	v_mul_f64 v[50:51], v[58:59], v[12:13]
	s_waitcnt vmcnt(0) lgkmcnt(1)
	v_mul_f64 v[36:37], v[54:55], v[22:23]
	v_mul_f64 v[38:39], v[54:55], v[20:21]
	v_fma_f64 v[32:33], v[56:57], v[12:13], v[48:49]
	v_fma_f64 v[34:35], v[56:57], v[14:15], -v[50:51]
	v_add_co_u32 v48, s0, v42, s2
	v_add_co_ci_u32_e64 v49, s0, s3, v43, s0
	ds_read_b128 v[12:15], v212 offset:13216
	v_fma_f64 v[36:37], v[52:53], v[20:21], v[36:37]
	v_fma_f64 v[38:39], v[52:53], v[22:23], -v[38:39]
	ds_read_b128 v[20:23], v212 offset:6272
	s_clause 0x3
	buffer_load_dword v52, off, s[36:39], 0 offset:200
	buffer_load_dword v53, off, s[36:39], 0 offset:204
	;; [unrolled: 1-line block ×4, first 2 shown]
	global_store_dwordx4 v[40:41], v[4:7], off
	ds_read_b128 v[4:7], v212 offset:21056
	global_store_dwordx4 v[0:1], v[8:11], off
	global_store_dwordx4 v[42:43], v[24:27], off
	;; [unrolled: 1-line block ×3, first 2 shown]
	ds_read_b128 v[8:11], v212 offset:14112
	s_clause 0x3
	buffer_load_dword v58, off, s[36:39], 0 offset:152
	buffer_load_dword v59, off, s[36:39], 0 offset:156
	;; [unrolled: 1-line block ×4, first 2 shown]
	ds_read_b128 v[24:27], v212 offset:28896
	ds_read_b128 v[40:43], v212 offset:29792
	v_add_co_u32 v48, s0, v48, s2
	v_mul_f64 v[28:29], v[32:33], s[4:5]
	v_mul_f64 v[30:31], v[34:35], s[4:5]
	ds_read_b128 v[32:35], v212 offset:21952
	s_clause 0x7
	buffer_load_dword v82, off, s[36:39], 0 offset:280
	buffer_load_dword v83, off, s[36:39], 0 offset:284
	;; [unrolled: 1-line block ×8, first 2 shown]
	v_add_co_ci_u32_e64 v49, s0, s3, v49, s0
	v_mul_f64 v[36:37], v[36:37], s[4:5]
	v_mul_f64 v[38:39], v[38:39], s[4:5]
	s_waitcnt vmcnt(12) lgkmcnt(7)
	v_mul_f64 v[44:45], v[54:55], v[18:19]
	v_mul_f64 v[46:47], v[54:55], v[16:17]
	s_waitcnt vmcnt(8) lgkmcnt(6)
	;; [unrolled: 3-line block ×3, first 2 shown]
	v_mul_f64 v[54:55], v[76:77], v[26:27]
	v_mul_f64 v[56:57], v[76:77], v[24:25]
	s_clause 0x3
	buffer_load_dword v76, off, s[36:39], 0 offset:136
	buffer_load_dword v77, off, s[36:39], 0 offset:140
	;; [unrolled: 1-line block ×4, first 2 shown]
	v_fma_f64 v[16:17], v[52:53], v[16:17], v[44:45]
	v_fma_f64 v[18:19], v[52:53], v[18:19], -v[46:47]
	v_mul_f64 v[44:45], v[84:85], v[6:7]
	v_mul_f64 v[46:47], v[84:85], v[4:5]
	v_add_co_u32 v52, s0, v48, s2
	v_fma_f64 v[0:1], v[58:59], v[12:13], v[0:1]
	v_fma_f64 v[50:51], v[58:59], v[14:15], -v[50:51]
	v_add_co_ci_u32_e64 v53, s0, s3, v49, s0
	v_fma_f64 v[24:25], v[74:75], v[24:25], v[54:55]
	v_fma_f64 v[26:27], v[74:75], v[26:27], -v[56:57]
	v_mul_f64 v[12:13], v[16:17], s[4:5]
	v_mul_f64 v[14:15], v[18:19], s[4:5]
	v_fma_f64 v[16:17], v[82:83], v[4:5], v[44:45]
	v_fma_f64 v[18:19], v[82:83], v[6:7], -v[46:47]
	v_mul_f64 v[4:5], v[0:1], s[4:5]
	v_mul_f64 v[6:7], v[50:51], s[4:5]
	s_waitcnt vmcnt(0)
	v_mul_f64 v[58:59], v[78:79], v[22:23]
	v_mul_f64 v[60:61], v[78:79], v[20:21]
	s_clause 0x7
	buffer_load_dword v78, off, s[36:39], 0 offset:248
	buffer_load_dword v79, off, s[36:39], 0 offset:252
	;; [unrolled: 1-line block ×8, first 2 shown]
	v_fma_f64 v[0:1], v[76:77], v[20:21], v[58:59]
	v_fma_f64 v[22:23], v[76:77], v[22:23], -v[60:61]
	v_mul_f64 v[20:21], v[0:1], s[4:5]
	v_mul_f64 v[22:23], v[22:23], s[4:5]
	s_waitcnt vmcnt(4)
	v_mul_f64 v[62:63], v[80:81], v[10:11]
	s_waitcnt vmcnt(0) lgkmcnt(0)
	v_mul_f64 v[66:67], v[86:87], v[34:35]
	v_mul_f64 v[68:69], v[86:87], v[32:33]
	s_clause 0x3
	buffer_load_dword v86, off, s[36:39], 0 offset:328
	buffer_load_dword v87, off, s[36:39], 0 offset:332
	;; [unrolled: 1-line block ×4, first 2 shown]
	v_mul_f64 v[64:65], v[80:81], v[8:9]
	global_store_dwordx4 v[48:49], v[28:31], off
	global_store_dwordx4 v[52:53], v[36:39], off
	v_add_co_u32 v36, s0, v52, s10
	v_add_co_ci_u32_e64 v37, s0, s1, v53, s0
	global_store_dwordx4 v[36:37], v[12:15], off
	v_fma_f64 v[28:29], v[78:79], v[8:9], v[62:63]
	v_fma_f64 v[32:33], v[84:85], v[32:33], v[66:67]
	v_fma_f64 v[34:35], v[84:85], v[34:35], -v[68:69]
	v_mul_f64 v[8:9], v[16:17], s[4:5]
	v_fma_f64 v[30:31], v[78:79], v[10:11], -v[64:65]
	v_mul_f64 v[10:11], v[18:19], s[4:5]
	v_mul_f64 v[16:17], v[24:25], s[4:5]
	v_mul_f64 v[18:19], v[26:27], s[4:5]
	v_mul_f64 v[24:25], v[28:29], s[4:5]
	v_mul_f64 v[28:29], v[32:33], s[4:5]
	v_mul_f64 v[26:27], v[30:31], s[4:5]
	v_mul_f64 v[30:31], v[34:35], s[4:5]
	s_waitcnt vmcnt(0)
	v_mul_f64 v[70:71], v[88:89], v[42:43]
	v_mul_f64 v[72:73], v[88:89], v[40:41]
	v_fma_f64 v[38:39], v[86:87], v[40:41], v[70:71]
	v_fma_f64 v[40:41], v[86:87], v[42:43], -v[72:73]
	v_add_co_u32 v42, s0, v36, s2
	v_add_co_ci_u32_e64 v43, s0, s3, v37, s0
	v_add_co_u32 v44, s0, v42, s2
	v_add_co_ci_u32_e64 v45, s0, s3, v43, s0
	global_store_dwordx4 v[42:43], v[4:7], off
	v_add_co_u32 v46, s0, v44, s2
	v_add_co_ci_u32_e64 v47, s0, s3, v45, s0
	global_store_dwordx4 v[44:45], v[8:11], off
	v_mul_f64 v[32:33], v[38:39], s[4:5]
	v_add_co_u32 v38, s0, v46, s10
	v_add_co_ci_u32_e64 v39, s0, s1, v47, s0
	v_mul_f64 v[34:35], v[40:41], s[4:5]
	v_add_co_u32 v12, s0, v38, s2
	v_add_co_ci_u32_e64 v13, s0, s3, v39, s0
	v_add_co_u32 v4, s0, v12, s2
	v_add_co_ci_u32_e64 v5, s0, s3, v13, s0
	;; [unrolled: 2-line block ×3, first 2 shown]
	global_store_dwordx4 v[46:47], v[16:19], off
	global_store_dwordx4 v[38:39], v[20:23], off
	;; [unrolled: 1-line block ×5, first 2 shown]
	s_and_b32 exec_lo, exec_lo, vcc_lo
	s_cbranch_execz .LBB0_23
; %bb.22:
	buffer_load_dword v4, off, s[36:39], 0 offset:28 ; 4-byte Folded Reload
	s_mul_i32 s0, s9, 0xffffc640
	s_sub_i32 s0, s0, s8
	s_waitcnt vmcnt(0)
	global_load_dwordx4 v[4:7], v4, s[6:7]
	ds_read_b128 v[8:11], v212 offset:7168
	ds_read_b128 v[12:15], v212 offset:15008
	s_waitcnt vmcnt(0) lgkmcnt(1)
	v_mul_f64 v[16:17], v[10:11], v[6:7]
	v_mul_f64 v[6:7], v[8:9], v[6:7]
	v_fma_f64 v[8:9], v[8:9], v[4:5], v[16:17]
	v_fma_f64 v[6:7], v[4:5], v[10:11], -v[6:7]
	s_clause 0x1
	buffer_load_dword v4, off, s[36:39], 0
	buffer_load_dword v5, off, s[36:39], 0 offset:4
	v_mul_f64 v[6:7], v[6:7], s[4:5]
	s_waitcnt vmcnt(0)
	v_mov_b32_e32 v5, v4
	v_mad_u64_u32 v[10:11], null, s8, v5, 0
	v_mov_b32_e32 v4, v11
	v_mad_u64_u32 v[16:17], null, s9, v5, v[4:5]
	v_mul_f64 v[4:5], v[8:9], s[4:5]
	v_mov_b32_e32 v11, v16
	v_lshlrev_b64 v[8:9], 4, v[10:11]
	v_add_co_u32 v2, vcc_lo, v2, v8
	v_add_co_ci_u32_e32 v3, vcc_lo, v3, v9, vcc_lo
	global_store_dwordx4 v[2:3], v[4:7], off
	s_clause 0x1
	buffer_load_dword v2, off, s[36:39], 0 offset:40
	buffer_load_dword v3, off, s[36:39], 0 offset:44
	s_waitcnt vmcnt(0)
	global_load_dwordx4 v[2:5], v[2:3], off offset:672
	s_waitcnt vmcnt(0) lgkmcnt(0)
	v_mul_f64 v[6:7], v[14:15], v[4:5]
	v_mul_f64 v[4:5], v[12:13], v[4:5]
	v_fma_f64 v[6:7], v[12:13], v[2:3], v[6:7]
	v_fma_f64 v[4:5], v[2:3], v[14:15], -v[4:5]
	v_mad_u64_u32 v[12:13], null, 0xffffc640, s8, v[0:1]
	v_add_nc_u32_e32 v13, s0, v13
	v_mul_f64 v[2:3], v[6:7], s[4:5]
	v_mul_f64 v[4:5], v[4:5], s[4:5]
	global_store_dwordx4 v[12:13], v[2:5], off
	s_clause 0x1
	buffer_load_dword v0, off, s[36:39], 0 offset:32
	buffer_load_dword v1, off, s[36:39], 0 offset:36
	s_waitcnt vmcnt(0)
	global_load_dwordx4 v[0:3], v[0:1], off offset:320
	ds_read_b128 v[4:7], v212 offset:22848
	ds_read_b128 v[8:11], v212 offset:30688
	s_waitcnt vmcnt(0) lgkmcnt(1)
	v_mul_f64 v[14:15], v[6:7], v[2:3]
	v_mul_f64 v[2:3], v[4:5], v[2:3]
	v_fma_f64 v[4:5], v[4:5], v[0:1], v[14:15]
	v_fma_f64 v[2:3], v[0:1], v[6:7], -v[2:3]
	v_mul_f64 v[0:1], v[4:5], s[4:5]
	v_mul_f64 v[2:3], v[2:3], s[4:5]
	v_add_co_u32 v4, vcc_lo, v12, s2
	v_add_co_ci_u32_e32 v5, vcc_lo, s3, v13, vcc_lo
	global_store_dwordx4 v[4:5], v[0:3], off
	s_clause 0x1
	buffer_load_dword v0, off, s[36:39], 0 offset:48
	buffer_load_dword v1, off, s[36:39], 0 offset:52
	v_add_co_u32 v4, vcc_lo, v4, s2
	v_add_co_ci_u32_e32 v5, vcc_lo, s3, v5, vcc_lo
	s_waitcnt vmcnt(0)
	global_load_dwordx4 v[0:3], v[0:1], off offset:2016
	s_waitcnt vmcnt(0) lgkmcnt(0)
	v_mul_f64 v[6:7], v[10:11], v[2:3]
	v_mul_f64 v[2:3], v[8:9], v[2:3]
	v_fma_f64 v[6:7], v[8:9], v[0:1], v[6:7]
	v_fma_f64 v[2:3], v[0:1], v[10:11], -v[2:3]
	v_mul_f64 v[0:1], v[6:7], s[4:5]
	v_mul_f64 v[2:3], v[2:3], s[4:5]
	global_store_dwordx4 v[4:5], v[0:3], off
.LBB0_23:
	s_endpgm
	.section	.rodata,"a",@progbits
	.p2align	6, 0x0
	.amdhsa_kernel bluestein_single_fwd_len1960_dim1_dp_op_CI_CI
		.amdhsa_group_segment_fixed_size 31360
		.amdhsa_private_segment_fixed_size 1856
		.amdhsa_kernarg_size 104
		.amdhsa_user_sgpr_count 6
		.amdhsa_user_sgpr_private_segment_buffer 1
		.amdhsa_user_sgpr_dispatch_ptr 0
		.amdhsa_user_sgpr_queue_ptr 0
		.amdhsa_user_sgpr_kernarg_segment_ptr 1
		.amdhsa_user_sgpr_dispatch_id 0
		.amdhsa_user_sgpr_flat_scratch_init 0
		.amdhsa_user_sgpr_private_segment_size 0
		.amdhsa_wavefront_size32 1
		.amdhsa_uses_dynamic_stack 0
		.amdhsa_system_sgpr_private_segment_wavefront_offset 1
		.amdhsa_system_sgpr_workgroup_id_x 1
		.amdhsa_system_sgpr_workgroup_id_y 0
		.amdhsa_system_sgpr_workgroup_id_z 0
		.amdhsa_system_sgpr_workgroup_info 0
		.amdhsa_system_vgpr_workitem_id 0
		.amdhsa_next_free_vgpr 256
		.amdhsa_next_free_sgpr 40
		.amdhsa_reserve_vcc 1
		.amdhsa_reserve_flat_scratch 0
		.amdhsa_float_round_mode_32 0
		.amdhsa_float_round_mode_16_64 0
		.amdhsa_float_denorm_mode_32 3
		.amdhsa_float_denorm_mode_16_64 3
		.amdhsa_dx10_clamp 1
		.amdhsa_ieee_mode 1
		.amdhsa_fp16_overflow 0
		.amdhsa_workgroup_processor_mode 1
		.amdhsa_memory_ordered 1
		.amdhsa_forward_progress 0
		.amdhsa_shared_vgpr_count 0
		.amdhsa_exception_fp_ieee_invalid_op 0
		.amdhsa_exception_fp_denorm_src 0
		.amdhsa_exception_fp_ieee_div_zero 0
		.amdhsa_exception_fp_ieee_overflow 0
		.amdhsa_exception_fp_ieee_underflow 0
		.amdhsa_exception_fp_ieee_inexact 0
		.amdhsa_exception_int_div_zero 0
	.end_amdhsa_kernel
	.text
.Lfunc_end0:
	.size	bluestein_single_fwd_len1960_dim1_dp_op_CI_CI, .Lfunc_end0-bluestein_single_fwd_len1960_dim1_dp_op_CI_CI
                                        ; -- End function
	.section	.AMDGPU.csdata,"",@progbits
; Kernel info:
; codeLenInByte = 56988
; NumSgprs: 42
; NumVgprs: 256
; ScratchSize: 1856
; MemoryBound: 0
; FloatMode: 240
; IeeeMode: 1
; LDSByteSize: 31360 bytes/workgroup (compile time only)
; SGPRBlocks: 5
; VGPRBlocks: 31
; NumSGPRsForWavesPerEU: 42
; NumVGPRsForWavesPerEU: 256
; Occupancy: 2
; WaveLimiterHint : 1
; COMPUTE_PGM_RSRC2:SCRATCH_EN: 1
; COMPUTE_PGM_RSRC2:USER_SGPR: 6
; COMPUTE_PGM_RSRC2:TRAP_HANDLER: 0
; COMPUTE_PGM_RSRC2:TGID_X_EN: 1
; COMPUTE_PGM_RSRC2:TGID_Y_EN: 0
; COMPUTE_PGM_RSRC2:TGID_Z_EN: 0
; COMPUTE_PGM_RSRC2:TIDIG_COMP_CNT: 0
	.text
	.p2alignl 6, 3214868480
	.fill 48, 4, 3214868480
	.type	__hip_cuid_3e03af3f31135030,@object ; @__hip_cuid_3e03af3f31135030
	.section	.bss,"aw",@nobits
	.globl	__hip_cuid_3e03af3f31135030
__hip_cuid_3e03af3f31135030:
	.byte	0                               ; 0x0
	.size	__hip_cuid_3e03af3f31135030, 1

	.ident	"AMD clang version 19.0.0git (https://github.com/RadeonOpenCompute/llvm-project roc-6.4.0 25133 c7fe45cf4b819c5991fe208aaa96edf142730f1d)"
	.section	".note.GNU-stack","",@progbits
	.addrsig
	.addrsig_sym __hip_cuid_3e03af3f31135030
	.amdgpu_metadata
---
amdhsa.kernels:
  - .args:
      - .actual_access:  read_only
        .address_space:  global
        .offset:         0
        .size:           8
        .value_kind:     global_buffer
      - .actual_access:  read_only
        .address_space:  global
        .offset:         8
        .size:           8
        .value_kind:     global_buffer
      - .actual_access:  read_only
        .address_space:  global
        .offset:         16
        .size:           8
        .value_kind:     global_buffer
      - .actual_access:  read_only
        .address_space:  global
        .offset:         24
        .size:           8
        .value_kind:     global_buffer
      - .actual_access:  read_only
        .address_space:  global
        .offset:         32
        .size:           8
        .value_kind:     global_buffer
      - .offset:         40
        .size:           8
        .value_kind:     by_value
      - .address_space:  global
        .offset:         48
        .size:           8
        .value_kind:     global_buffer
      - .address_space:  global
        .offset:         56
        .size:           8
        .value_kind:     global_buffer
      - .address_space:  global
        .offset:         64
        .size:           8
        .value_kind:     global_buffer
      - .address_space:  global
        .offset:         72
        .size:           8
        .value_kind:     global_buffer
      - .offset:         80
        .size:           4
        .value_kind:     by_value
      - .address_space:  global
        .offset:         88
        .size:           8
        .value_kind:     global_buffer
      - .address_space:  global
        .offset:         96
        .size:           8
        .value_kind:     global_buffer
    .group_segment_fixed_size: 31360
    .kernarg_segment_align: 8
    .kernarg_segment_size: 104
    .language:       OpenCL C
    .language_version:
      - 2
      - 0
    .max_flat_workgroup_size: 56
    .name:           bluestein_single_fwd_len1960_dim1_dp_op_CI_CI
    .private_segment_fixed_size: 1856
    .sgpr_count:     42
    .sgpr_spill_count: 0
    .symbol:         bluestein_single_fwd_len1960_dim1_dp_op_CI_CI.kd
    .uniform_work_group_size: 1
    .uses_dynamic_stack: false
    .vgpr_count:     256
    .vgpr_spill_count: 477
    .wavefront_size: 32
    .workgroup_processor_mode: 1
amdhsa.target:   amdgcn-amd-amdhsa--gfx1030
amdhsa.version:
  - 1
  - 2
...

	.end_amdgpu_metadata
